;; amdgpu-corpus repo=vllm-project/vllm kind=triton arch=gfx950 opt=O3 lang=triton
	.amdgcn_target "amdgcn-amd-amdhsa--gfx950"
	.amdhsa_code_object_version 5
	.text
	.globl	fused_moe_kernel                ; -- Begin function fused_moe_kernel
	.p2align	8
	.type	fused_moe_kernel,@function
fused_moe_kernel:                       ; @fused_moe_kernel
.Lfunc_begin0:
	.cfi_sections .debug_frame
	.cfi_startproc
; %bb.185:
	.file	1 "/root/src/amdgpu-assembly/repos/vllm-project__vllm/triton_aot_kernels" "fused_moe_aot.py"
	.loc	1 27 0 prologue_end             ; fused_moe_aot.py:27:0
	s_load_dwordx2 s[2:3], s[0:1], 0x0
	s_load_dwordx8 s[4:11], s[0:1], 0x8
	s_load_dwordx4 s[12:15], s[0:1], 0x28
	s_waitcnt lgkmcnt(0)
	s_branch .LBB0_0
	.loc	1 0 0 is_stmt 0                 ; :0:0
.Ltmp0:
	.p2align	8
; %bb.186:
.LBB0_0:
	s_load_dword s56, s[0:1], 0x50
	s_load_dword s8, s[0:1], 0x58
.Ltmp1:
	.loc	1 117 22 is_stmt 1              ; fused_moe_aot.py:117:22
	s_abs_i32 s12, s16
	.loc	1 223 20                        ; fused_moe_aot.py:223:20
	v_readfirstlane_b32 s61, v0
.Ltmp2:
	.file	2 "/root/.local/lib/python3.13/site-packages/triton/language" "standard.py"
	.loc	2 43 17                         ; standard.py:43:17 @[ fused_moe_aot.py:115:27 ]
	s_waitcnt lgkmcnt(0)
	s_add_i32 s9, s56, 63
	.loc	2 43 30 is_stmt 0               ; standard.py:43:30 @[ fused_moe_aot.py:115:27 ]
	s_ashr_i32 s10, s9, 31
	s_lshr_b32 s10, s10, 26
	s_add_i32 s9, s9, s10
	s_ashr_i32 s9, s9, 6
.Ltmp3:
	.loc	1 116 38 is_stmt 1              ; fused_moe_aot.py:116:38
	s_lshl_b32 s10, s9, 3
	.loc	1 117 22                        ; fused_moe_aot.py:117:22
	s_abs_i32 s9, s10
	v_cvt_f32_u32_e32 v1, s9
	s_sub_i32 s13, 0, s9
.Ltmp4:
	.loc	2 43 17                         ; standard.py:43:17 @[ fused_moe_aot.py:114:28 ]
	s_add_i32 s8, s8, 63
	.loc	2 43 30 is_stmt 0               ; standard.py:43:30 @[ fused_moe_aot.py:114:28 ]
	s_ashr_i32 s11, s8, 31
.Ltmp5:
	.loc	1 117 22 is_stmt 1              ; fused_moe_aot.py:117:22
	v_rcp_iflag_f32_e32 v1, v1
.Ltmp6:
	.loc	2 43 30                         ; standard.py:43:30 @[ fused_moe_aot.py:114:28 ]
	s_lshr_b32 s11, s11, 26
	s_add_i32 s8, s8, s11
.Ltmp7:
	.loc	1 117 22                        ; fused_moe_aot.py:117:22
	s_xor_b32 s11, s16, s10
	v_mul_f32_e32 v1, 0x4f7ffffe, v1
	v_cvt_u32_f32_e32 v1, v1
.Ltmp8:
	.loc	2 43 30                         ; standard.py:43:30 @[ fused_moe_aot.py:114:28 ]
	s_ashr_i32 s8, s8, 6
.Ltmp9:
	.loc	1 117 22                        ; fused_moe_aot.py:117:22
	s_ashr_i32 s11, s11, 31
	v_readfirstlane_b32 s17, v1
	s_mul_i32 s13, s13, s17
	s_mul_hi_u32 s13, s17, s13
	s_add_i32 s17, s17, s13
	s_mul_hi_u32 s13, s12, s17
	s_mul_i32 s17, s13, s9
	s_sub_i32 s12, s12, s17
	s_add_i32 s17, s13, 1
	s_sub_i32 s18, s12, s9
	s_cmp_ge_u32 s12, s9
	s_cselect_b32 s13, s17, s13
	s_cselect_b32 s12, s18, s12
	s_add_i32 s17, s13, 1
	s_cmp_ge_u32 s12, s9
	s_cselect_b32 s9, s17, s13
	s_xor_b32 s9, s9, s11
	s_sub_i32 s11, s9, s11
	.loc	1 118 29                        ; fused_moe_aot.py:118:29
	s_lshl_b32 s12, s11, 3
	.loc	1 119 35                        ; fused_moe_aot.py:119:35
	s_sub_i32 s8, s8, s12
	.loc	1 119 48 is_stmt 0              ; fused_moe_aot.py:119:48
	s_min_i32 s13, s8, 8
	.loc	1 121 40 is_stmt 1              ; fused_moe_aot.py:121:40
	s_abs_i32 s17, s13
	v_cvt_f32_u32_e32 v1, s17
	s_sub_i32 s18, 0, s17
	.loc	1 120 34                        ; fused_moe_aot.py:120:34
	s_mul_i32 s11, s11, s10
	s_sub_i32 s10, s16, s11
	.loc	1 121 40                        ; fused_moe_aot.py:121:40
	v_rcp_iflag_f32_e32 v1, v1
	s_abs_i32 s16, s10
	s_xor_b32 s11, s10, s13
	s_ashr_i32 s11, s11, 31
	v_mul_f32_e32 v1, 0x4f7ffffe, v1
	v_cvt_u32_f32_e32 v1, v1
	s_load_dwordx2 s[8:9], s[0:1], 0x48
	v_readfirstlane_b32 s19, v1
	s_mul_i32 s18, s18, s19
	s_mul_hi_u32 s18, s19, s18
	s_add_i32 s19, s19, s18
	s_mul_hi_u32 s18, s16, s19
	s_mul_i32 s19, s18, s17
	s_sub_i32 s16, s16, s19
	s_add_i32 s19, s18, 1
	s_sub_i32 s20, s16, s17
	s_cmp_ge_u32 s16, s17
	s_cselect_b32 s18, s19, s18
	s_cselect_b32 s16, s20, s16
	s_add_i32 s19, s18, 1
	s_cmp_ge_u32 s16, s17
	s_cselect_b32 s16, s19, s18
	s_xor_b32 s16, s16, s11
	s_sub_i32 s57, s16, s11
	.loc	1 130 37                        ; fused_moe_aot.py:130:37
	s_waitcnt lgkmcnt(0)
	s_load_dword s9, s[8:9], 0x0
	.loc	1 120 54                        ; fused_moe_aot.py:120:54
	s_mul_i32 s8, s57, s13
	s_sub_i32 s8, s10, s8
	.loc	1 120 27 is_stmt 0              ; fused_moe_aot.py:120:27
	s_add_i32 s8, s8, s12
	.loc	1 131 15 is_stmt 1              ; fused_moe_aot.py:131:15
	s_lshl_b32 s10, s8, 6
	.loc	1 131 31 is_stmt 0              ; fused_moe_aot.py:131:31
	s_waitcnt lgkmcnt(0)
	s_cmp_lt_i32 s10, s9
	s_cbranch_scc0 .LBB0_184
; %bb.1:
	.loc	1 0 31                          ; fused_moe_aot.py:0:31
	s_load_dwordx4 s[16:19], s[0:1], 0x38
	s_load_dword s33, s[0:1], 0x5c
	.loc	1 134 47 is_stmt 1              ; fused_moe_aot.py:134:47
	s_ashr_i32 s11, s10, 31
	.loc	1 129 24                        ; fused_moe_aot.py:129:24
	s_bfe_u32 s58, s61, 0x20006
	.loc	1 135 52                        ; fused_moe_aot.py:135:52
	s_lshl_b64 s[10:11], s[10:11], 2
	s_waitcnt lgkmcnt(0)
	s_add_u32 s28, s16, s10
	s_addc_u32 s29, s17, s11
	.loc	1 148 43                        ; fused_moe_aot.py:148:43
	s_ashr_i32 s9, s8, 31
	s_lshl_b64 s[8:9], s[8:9], 2
	s_add_u32 s8, s18, s8
	s_addc_u32 s9, s19, s9
	.loc	1 148 26 is_stmt 0              ; fused_moe_aot.py:148:26
	s_load_dword s34, s[8:9], 0x0
	s_load_dwordx2 s[26:27], s[0:1], 0x74
	.loc	1 129 24 is_stmt 1              ; fused_moe_aot.py:129:24
	v_and_b32_e32 v18, 63, v0
	.loc	1 129 41 is_stmt 0              ; fused_moe_aot.py:129:41
	v_mov_b32_e32 v58, 0
	.loc	1 149 22 is_stmt 1              ; fused_moe_aot.py:149:22
	s_waitcnt lgkmcnt(0)
	s_cmp_lg_u32 s34, -1
	s_cbranch_scc0 .LBB0_20
; %bb.2:
	.loc	1 0 0 is_stmt 0                 ; fused_moe_aot.py:0
	s_and_b32 s8, s61, 0xc0
	.loc	1 129 24 is_stmt 1              ; fused_moe_aot.py:129:24
	s_and_b32 s60, s61, 0x80
	v_or_b32_e32 v19, s8, v18
	v_and_b32_e32 v1, 31, v0
	s_lshr_b32 s8, s60, 2
	.loc	1 135 52                        ; fused_moe_aot.py:135:52
	v_lshrrev_b32_e32 v2, 3, v19
	.loc	1 129 24                        ; fused_moe_aot.py:129:24
	v_or_b32_e32 v4, s8, v1
	.loc	1 135 52                        ; fused_moe_aot.py:135:52
	v_and_b32_e32 v2, 28, v2
	v_lshlrev_b32_e32 v5, 2, v4
	.loc	1 135 29 is_stmt 0              ; fused_moe_aot.py:135:29
	global_load_dword v3, v2, s[28:29]
	global_load_dword v20, v5, s[28:29]
	global_load_dword v4, v2, s[28:29] offset:32
	global_load_dword v6, v2, s[28:29] offset:64
	;; [unrolled: 1-line block ×7, first 2 shown]
	.loc	1 167 81 is_stmt 1              ; fused_moe_aot.py:167:81
	s_abs_i32 s35, s56
	v_cvt_f32_u32_e32 v2, s35
	s_load_dwordx2 s[42:43], s[0:1], 0x60
	s_load_dword s69, s[0:1], 0x54
	v_rcp_iflag_f32_e32 v2, v2
	.loc	1 170 69                        ; fused_moe_aot.py:170:69
	s_waitcnt lgkmcnt(0)
	v_mul_lo_u32 v22, s43, v1
.Ltmp10:
	.loc	2 43 17                         ; standard.py:43:17 @[ fused_moe_aot.py:215:33 ]
	s_add_i32 s70, s69, 31
.Ltmp11:
	.loc	1 220 58                        ; fused_moe_aot.py:220:58
	v_cmp_gt_i32_e32 vcc, s69, v1
	.loc	1 167 81                        ; fused_moe_aot.py:167:81
	v_mul_f32_e32 v5, 0x4f7ffffe, v2
	.loc	1 215 22                        ; fused_moe_aot.py:215:22
	s_cmp_gt_i32 s70, 31
	.loc	1 170 51                        ; fused_moe_aot.py:170:51
	v_ashrrev_i32_e32 v23, 31, v22
	.loc	1 215 22                        ; fused_moe_aot.py:215:22
	s_cselect_b64 s[30:31], -1, 0
	.loc	1 170 31                        ; fused_moe_aot.py:170:31
	s_waitcnt vmcnt(8)
	v_lshrrev_b32_e32 v2, 31, v3
	v_add_u32_e32 v2, v3, v2
	v_ashrrev_i32_e32 v2, 1, v2
	.loc	1 146 30                        ; fused_moe_aot.py:146:30
	v_cmp_gt_i32_e64 s[24:25], s33, v3
	.loc	1 170 39                        ; fused_moe_aot.py:170:39
	v_mad_i64_i32 v[24:25], s[10:11], v2, s42, 0
	.loc	1 220 40                        ; fused_moe_aot.py:220:40
	s_and_b64 s[8:9], vcc, s[24:25]
	.loc	1 170 8                         ; fused_moe_aot.py:170:8
	v_lshl_add_u64 v[2:3], v[24:25], 1, s[2:3]
	v_lshl_add_u64 v[2:3], v[22:23], 1, v[2:3]
	.loc	1 215 22                        ; fused_moe_aot.py:215:22
	s_and_b64 s[10:11], s[30:31], s[8:9]
	.loc	1 219 12                        ; fused_moe_aot.py:219:12
	s_and_saveexec_b64 s[8:9], s[10:11]
	s_cbranch_execz .LBB0_4
; %bb.3:
	global_load_ushort v58, v[2:3], off
.LBB0_4:
	.loc	1 0 12 is_stmt 0                ; fused_moe_aot.py:0:12
	s_or_b64 exec, exec, s[8:9]
	v_cvt_u32_f32_e32 v11, v5
	.loc	1 170 31 is_stmt 1              ; fused_moe_aot.py:170:31
	s_waitcnt vmcnt(6)
	v_lshrrev_b32_e32 v5, 31, v4
	.loc	1 146 30                        ; fused_moe_aot.py:146:30
	v_cmp_gt_i32_e64 s[20:21], s33, v4
	.loc	1 170 31                        ; fused_moe_aot.py:170:31
	v_add_u32_e32 v4, v4, v5
	v_ashrrev_i32_e32 v4, 1, v4
	.loc	1 170 39 is_stmt 0              ; fused_moe_aot.py:170:39
	v_mad_i64_i32 v[26:27], s[8:9], v4, s42, 0
	.loc	1 170 8                         ; fused_moe_aot.py:170:8
	v_lshl_add_u64 v[4:5], v[26:27], 1, s[2:3]
	.loc	1 220 40 is_stmt 1              ; fused_moe_aot.py:220:40
	s_and_b64 s[8:9], vcc, s[20:21]
	.loc	1 0 0 is_stmt 0                 ; fused_moe_aot.py:0
	s_lshl_b32 s59, s57, 6
	s_sub_i32 s10, 0, s35
	.loc	1 170 8 is_stmt 1               ; fused_moe_aot.py:170:8
	v_lshl_add_u64 v[4:5], v[22:23], 1, v[4:5]
	.loc	1 215 22                        ; fused_moe_aot.py:215:22
	s_and_b64 s[12:13], s[30:31], s[8:9]
	v_mov_b32_e32 v60, 0
	v_mov_b32_e32 v59, 0
	.loc	1 219 12                        ; fused_moe_aot.py:219:12
	s_and_saveexec_b64 s[8:9], s[12:13]
	s_cbranch_execz .LBB0_6
; %bb.5:
	global_load_ushort v59, v[4:5], off
.LBB0_6:
	.loc	1 0 12 is_stmt 0                ; fused_moe_aot.py:0:12
	s_or_b64 exec, exec, s[8:9]
	.loc	1 170 31 is_stmt 1              ; fused_moe_aot.py:170:31
	s_waitcnt vmcnt(5)
	v_lshrrev_b32_e32 v7, 31, v6
	.loc	1 146 30                        ; fused_moe_aot.py:146:30
	v_cmp_gt_i32_e64 s[22:23], s33, v6
	.loc	1 170 31                        ; fused_moe_aot.py:170:31
	v_add_u32_e32 v6, v6, v7
	v_ashrrev_i32_e32 v6, 1, v6
	.loc	1 170 39 is_stmt 0              ; fused_moe_aot.py:170:39
	v_mad_i64_i32 v[28:29], s[8:9], v6, s42, 0
	.loc	1 170 8                         ; fused_moe_aot.py:170:8
	v_lshl_add_u64 v[6:7], v[28:29], 1, s[2:3]
	.loc	1 220 40 is_stmt 1              ; fused_moe_aot.py:220:40
	s_and_b64 s[8:9], vcc, s[22:23]
	.loc	1 0 0 is_stmt 0                 ; fused_moe_aot.py:0
	v_or_b32_e32 v13, s59, v18
	v_mul_lo_u32 v9, s10, v11
	.loc	1 170 8 is_stmt 1               ; fused_moe_aot.py:170:8
	v_lshl_add_u64 v[6:7], v[22:23], 1, v[6:7]
	.loc	1 215 22                        ; fused_moe_aot.py:215:22
	s_and_b64 s[10:11], s[30:31], s[8:9]
	.loc	1 219 12                        ; fused_moe_aot.py:219:12
	s_and_saveexec_b64 s[8:9], s[10:11]
	s_cbranch_execz .LBB0_8
; %bb.7:
	global_load_ushort v60, v[6:7], off
.LBB0_8:
	.loc	1 0 12 is_stmt 0                ; fused_moe_aot.py:0:12
	s_or_b64 exec, exec, s[8:9]
	v_mul_hi_u32 v17, v11, v9
	.loc	1 170 31 is_stmt 1              ; fused_moe_aot.py:170:31
	s_waitcnt vmcnt(4)
	v_lshrrev_b32_e32 v9, 31, v8
	.loc	1 146 30                        ; fused_moe_aot.py:146:30
	v_cmp_gt_i32_e64 s[8:9], s33, v8
	.loc	1 170 31                        ; fused_moe_aot.py:170:31
	v_add_u32_e32 v8, v8, v9
	v_ashrrev_i32_e32 v8, 1, v8
	.loc	1 170 39 is_stmt 0              ; fused_moe_aot.py:170:39
	v_mad_i64_i32 v[30:31], s[10:11], v8, s42, 0
	.loc	1 170 8                         ; fused_moe_aot.py:170:8
	v_lshl_add_u64 v[8:9], v[30:31], 1, s[2:3]
	.loc	1 220 40 is_stmt 1              ; fused_moe_aot.py:220:40
	s_and_b64 s[10:11], vcc, s[8:9]
	.loc	1 0 0 is_stmt 0                 ; fused_moe_aot.py:0
	v_sub_u32_e32 v15, 0, v13
	.loc	1 170 8 is_stmt 1               ; fused_moe_aot.py:170:8
	v_lshl_add_u64 v[8:9], v[22:23], 1, v[8:9]
	.loc	1 215 22                        ; fused_moe_aot.py:215:22
	s_and_b64 s[12:13], s[30:31], s[10:11]
	v_mov_b32_e32 v62, 0
	v_mov_b32_e32 v61, 0
	.loc	1 219 12                        ; fused_moe_aot.py:219:12
	s_and_saveexec_b64 s[10:11], s[12:13]
	s_cbranch_execz .LBB0_10
; %bb.9:
	global_load_ushort v61, v[8:9], off
.LBB0_10:
	.loc	1 0 12 is_stmt 0                ; fused_moe_aot.py:0:12
	s_or_b64 exec, exec, s[10:11]
	v_max_i32_e32 v21, v15, v13
	v_add_u32_e32 v13, v11, v17
	.loc	1 170 31 is_stmt 1              ; fused_moe_aot.py:170:31
	s_waitcnt vmcnt(3)
	v_lshrrev_b32_e32 v11, 31, v10
	.loc	1 146 30                        ; fused_moe_aot.py:146:30
	v_cmp_gt_i32_e64 s[10:11], s33, v10
	.loc	1 170 31                        ; fused_moe_aot.py:170:31
	v_add_u32_e32 v10, v10, v11
	v_ashrrev_i32_e32 v10, 1, v10
	.loc	1 170 39 is_stmt 0              ; fused_moe_aot.py:170:39
	v_mad_i64_i32 v[32:33], s[12:13], v10, s42, 0
	.loc	1 170 8                         ; fused_moe_aot.py:170:8
	v_lshl_add_u64 v[10:11], v[32:33], 1, s[2:3]
	.loc	1 220 40 is_stmt 1              ; fused_moe_aot.py:220:40
	s_and_b64 s[12:13], vcc, s[10:11]
	.loc	1 170 8                         ; fused_moe_aot.py:170:8
	v_lshl_add_u64 v[10:11], v[22:23], 1, v[10:11]
	.loc	1 215 22                        ; fused_moe_aot.py:215:22
	s_and_b64 s[16:17], s[30:31], s[12:13]
	.loc	1 219 12                        ; fused_moe_aot.py:219:12
	s_and_saveexec_b64 s[12:13], s[16:17]
	s_cbranch_execz .LBB0_12
; %bb.11:
	global_load_ushort v62, v[10:11], off
.LBB0_12:
	.loc	1 0 12 is_stmt 0                ; fused_moe_aot.py:0:12
	s_or_b64 exec, exec, s[12:13]
	v_mad_u64_u32 v[40:41], s[12:13], v21, v13, 0
	.loc	1 170 31 is_stmt 1              ; fused_moe_aot.py:170:31
	s_waitcnt vmcnt(2)
	v_lshrrev_b32_e32 v13, 31, v12
	.loc	1 146 30                        ; fused_moe_aot.py:146:30
	v_cmp_gt_i32_e64 s[12:13], s33, v12
	.loc	1 170 31                        ; fused_moe_aot.py:170:31
	v_add_u32_e32 v12, v12, v13
	v_ashrrev_i32_e32 v12, 1, v12
	.loc	1 170 39 is_stmt 0              ; fused_moe_aot.py:170:39
	v_mad_i64_i32 v[34:35], s[16:17], v12, s42, 0
	.loc	1 170 8                         ; fused_moe_aot.py:170:8
	v_lshl_add_u64 v[12:13], v[34:35], 1, s[2:3]
	.loc	1 220 40 is_stmt 1              ; fused_moe_aot.py:220:40
	s_and_b64 s[16:17], vcc, s[12:13]
	.loc	1 170 8                         ; fused_moe_aot.py:170:8
	v_lshl_add_u64 v[12:13], v[22:23], 1, v[12:13]
	.loc	1 215 22                        ; fused_moe_aot.py:215:22
	s_and_b64 s[18:19], s[30:31], s[16:17]
	v_mov_b32_e32 v64, 0
	v_mov_b32_e32 v63, 0
	.loc	1 219 12                        ; fused_moe_aot.py:219:12
	s_and_saveexec_b64 s[16:17], s[18:19]
	s_cbranch_execz .LBB0_14
; %bb.13:
	global_load_ushort v63, v[12:13], off
.LBB0_14:
	.loc	1 0 12 is_stmt 0                ; fused_moe_aot.py:0:12
	s_or_b64 exec, exec, s[16:17]
	.loc	1 170 31 is_stmt 1              ; fused_moe_aot.py:170:31
	s_waitcnt vmcnt(1)
	v_lshrrev_b32_e32 v15, 31, v14
	.loc	1 146 30                        ; fused_moe_aot.py:146:30
	v_cmp_gt_i32_e64 s[16:17], s33, v14
	.loc	1 170 31                        ; fused_moe_aot.py:170:31
	v_add_u32_e32 v14, v14, v15
	v_ashrrev_i32_e32 v14, 1, v14
	.loc	1 170 39 is_stmt 0              ; fused_moe_aot.py:170:39
	v_mad_i64_i32 v[36:37], s[18:19], v14, s42, 0
	.loc	1 170 8                         ; fused_moe_aot.py:170:8
	v_lshl_add_u64 v[14:15], v[36:37], 1, s[2:3]
	.loc	1 220 40 is_stmt 1              ; fused_moe_aot.py:220:40
	s_and_b64 s[18:19], vcc, s[16:17]
	.loc	1 0 0 is_stmt 0                 ; fused_moe_aot.py:0
	s_bfe_i32 s36, s57, 0x10019
	.loc	1 170 8 is_stmt 1               ; fused_moe_aot.py:170:8
	v_lshl_add_u64 v[14:15], v[22:23], 1, v[14:15]
	.loc	1 215 22                        ; fused_moe_aot.py:215:22
	s_and_b64 s[38:39], s[30:31], s[18:19]
	.loc	1 219 12                        ; fused_moe_aot.py:219:12
	s_and_saveexec_b64 s[18:19], s[38:39]
	s_cbranch_execz .LBB0_16
; %bb.15:
	global_load_ushort v64, v[14:15], off
.LBB0_16:
	.loc	1 0 12 is_stmt 0                ; fused_moe_aot.py:0:12
	s_or_b64 exec, exec, s[18:19]
	.loc	1 170 31 is_stmt 1              ; fused_moe_aot.py:170:31
	s_waitcnt vmcnt(0)
	v_lshrrev_b32_e32 v17, 31, v16
	s_load_dwordx2 s[50:51], s[0:1], 0x68
	s_load_dword s37, s[0:1], 0x70
	.loc	1 146 30                        ; fused_moe_aot.py:146:30
	v_cmp_gt_i32_e64 s[18:19], s33, v16
	.loc	1 170 31                        ; fused_moe_aot.py:170:31
	v_add_u32_e32 v16, v16, v17
	v_ashrrev_i32_e32 v16, 1, v16
	.loc	1 170 39 is_stmt 0              ; fused_moe_aot.py:170:39
	v_mad_i64_i32 v[38:39], s[0:1], v16, s42, 0
	.loc	1 170 8                         ; fused_moe_aot.py:170:8
	v_lshl_add_u64 v[16:17], v[38:39], 1, s[2:3]
	.loc	1 220 40 is_stmt 1              ; fused_moe_aot.py:220:40
	s_and_b64 s[0:1], vcc, s[18:19]
	.loc	1 170 8                         ; fused_moe_aot.py:170:8
	v_lshl_add_u64 v[16:17], v[22:23], 1, v[16:17]
	.loc	1 215 22                        ; fused_moe_aot.py:215:22
	s_and_b64 s[38:39], s[30:31], s[0:1]
	v_mov_b32_e32 v65, 0
	.loc	1 219 12                        ; fused_moe_aot.py:219:12
	s_and_saveexec_b64 s[0:1], s[38:39]
	s_cbranch_execz .LBB0_18
; %bb.17:
	global_load_ushort v65, v[16:17], off
.LBB0_18:
	.loc	1 0 12 is_stmt 0                ; fused_moe_aot.py:0:12
	s_or_b64 exec, exec, s[0:1]
	.loc	1 167 81 is_stmt 1              ; fused_moe_aot.py:167:81
	v_mul_lo_u32 v40, v41, s35
	v_sub_u32_e32 v21, v21, v40
	v_subrev_u32_e32 v40, s35, v21
	v_cmp_le_u32_e32 vcc, s35, v21
	.loc	1 175 24                        ; fused_moe_aot.py:175:24
	s_waitcnt lgkmcnt(0)
	s_mul_hi_i32 s1, s34, s50
	s_mul_i32 s0, s34, s50
	.loc	1 167 81                        ; fused_moe_aot.py:167:81
	v_cndmask_b32_e32 v21, v21, v40, vcc
	v_subrev_u32_e32 v40, s35, v21
	v_cmp_le_u32_e32 vcc, s35, v21
	.loc	1 175 10                        ; fused_moe_aot.py:175:10
	s_lshl_b64 s[34:35], s[0:1], 1
	s_add_u32 s38, s4, s34
	.loc	1 167 81                        ; fused_moe_aot.py:167:81
	v_cndmask_b32_e32 v21, v21, v40, vcc
	v_xor_b32_e32 v21, s36, v21
	.loc	1 176 29                        ; fused_moe_aot.py:176:29
	s_mul_i32 s0, s58, s51
	.loc	1 167 81                        ; fused_moe_aot.py:167:81
	v_subrev_u32_e32 v21, s36, v21
	.loc	1 175 10                        ; fused_moe_aot.py:175:10
	s_addc_u32 s39, s5, s35
	.loc	1 176 41                        ; fused_moe_aot.py:176:41
	s_ashr_i32 s1, s0, 31
	.loc	1 176 60 is_stmt 0              ; fused_moe_aot.py:176:60
	v_mad_i64_i32 v[40:41], s[36:37], v21, s37, 0
	.loc	1 223 51 is_stmt 1              ; fused_moe_aot.py:223:51
	s_cmp_ge_i32 s58, s69
	s_cselect_b64 s[36:37], -1, 0
	.loc	1 215 22                        ; fused_moe_aot.py:215:22
	s_xor_b64 s[54:55], s[30:31], -1
	.loc	1 176 11                        ; fused_moe_aot.py:176:11
	v_lshl_add_u64 v[56:57], v[40:41], 1, s[38:39]
	.loc	1 223 20                        ; fused_moe_aot.py:223:20
	s_or_b64 s[36:37], s[54:55], s[36:37]
	.loc	1 176 11                        ; fused_moe_aot.py:176:11
	v_lshl_add_u64 v[42:43], s[0:1], 1, v[56:57]
	.loc	1 223 20                        ; fused_moe_aot.py:223:20
	s_and_b64 vcc, exec, s[36:37]
	s_cbranch_vccnz .LBB0_21
; %bb.19:
	global_load_ushort v66, v[42:43], off
	s_branch .LBB0_22
.LBB0_20:
	.loc	1 0 20 is_stmt 0                ; fused_moe_aot.py:0:20
	s_mov_b64 s[0:1], 0
                                        ; implicit-def: $vgpr0_vgpr1
                                        ; implicit-def: $vgpr2
	s_cbranch_execnz .LBB0_151
	s_branch .LBB0_182
.LBB0_21:
	v_mov_b32_e32 v66, 0
.LBB0_22:
	.loc	1 176 29 is_stmt 1              ; fused_moe_aot.py:176:29
	s_lshl2_add_u32 s36, s51, s0
	.loc	1 129 24                        ; fused_moe_aot.py:129:24
	s_or_b32 s62, s58, 4
	.loc	1 176 41                        ; fused_moe_aot.py:176:41
	s_ashr_i32 s37, s36, 31
	.loc	1 223 51                        ; fused_moe_aot.py:223:51
	s_cmp_ge_i32 s62, s69
	s_cselect_b64 s[38:39], -1, 0
	.loc	1 223 20 is_stmt 0              ; fused_moe_aot.py:223:20
	s_or_b64 s[38:39], s[54:55], s[38:39]
	.loc	1 176 11 is_stmt 1              ; fused_moe_aot.py:176:11
	v_lshl_add_u64 v[44:45], s[36:37], 1, v[56:57]
	.loc	1 223 20                        ; fused_moe_aot.py:223:20
	s_and_b64 vcc, exec, s[38:39]
	s_cbranch_vccnz .LBB0_24
; %bb.23:
	global_load_ushort v67, v[44:45], off
	s_branch .LBB0_25
.LBB0_24:
	.loc	1 0 20 is_stmt 0                ; fused_moe_aot.py:0:20
	v_mov_b32_e32 v67, 0
.LBB0_25:
	.loc	1 176 29 is_stmt 1              ; fused_moe_aot.py:176:29
	s_lshl3_add_u32 s38, s51, s0
	.loc	1 129 24                        ; fused_moe_aot.py:129:24
	s_or_b32 s63, s58, 8
	.loc	1 176 41                        ; fused_moe_aot.py:176:41
	s_ashr_i32 s39, s38, 31
	.loc	1 223 51                        ; fused_moe_aot.py:223:51
	s_cmp_ge_i32 s63, s69
	s_cselect_b64 s[40:41], -1, 0
	.loc	1 223 20 is_stmt 0              ; fused_moe_aot.py:223:20
	s_or_b64 s[40:41], s[54:55], s[40:41]
	.loc	1 176 11 is_stmt 1              ; fused_moe_aot.py:176:11
	v_lshl_add_u64 v[46:47], s[38:39], 1, v[56:57]
	.loc	1 223 20                        ; fused_moe_aot.py:223:20
	s_and_b64 vcc, exec, s[40:41]
	s_cbranch_vccnz .LBB0_27
; %bb.26:
	global_load_ushort v68, v[46:47], off
	s_branch .LBB0_28
.LBB0_27:
	.loc	1 0 20 is_stmt 0                ; fused_moe_aot.py:0:20
	v_mov_b32_e32 v68, 0
.LBB0_28:
	.loc	1 176 29 is_stmt 1              ; fused_moe_aot.py:176:29
	s_mul_i32 s40, s51, 12
	s_add_i32 s40, s0, s40
	.loc	1 129 24                        ; fused_moe_aot.py:129:24
	s_or_b32 s64, s58, 12
	.loc	1 176 41                        ; fused_moe_aot.py:176:41
	s_ashr_i32 s41, s40, 31
	.loc	1 223 51                        ; fused_moe_aot.py:223:51
	s_cmp_ge_i32 s64, s69
	s_cselect_b64 s[44:45], -1, 0
	.loc	1 223 20 is_stmt 0              ; fused_moe_aot.py:223:20
	s_or_b64 s[44:45], s[54:55], s[44:45]
	.loc	1 176 11 is_stmt 1              ; fused_moe_aot.py:176:11
	v_lshl_add_u64 v[48:49], s[40:41], 1, v[56:57]
	.loc	1 223 20                        ; fused_moe_aot.py:223:20
	s_and_b64 vcc, exec, s[44:45]
	s_cbranch_vccnz .LBB0_30
; %bb.29:
	global_load_ushort v69, v[48:49], off
	s_branch .LBB0_31
.LBB0_30:
	.loc	1 0 20 is_stmt 0                ; fused_moe_aot.py:0:20
	v_mov_b32_e32 v69, 0
.LBB0_31:
	.loc	1 176 29 is_stmt 1              ; fused_moe_aot.py:176:29
	s_lshl4_add_u32 s44, s51, s0
	.loc	1 129 24                        ; fused_moe_aot.py:129:24
	s_or_b32 s65, s58, 16
	.loc	1 176 41                        ; fused_moe_aot.py:176:41
	s_ashr_i32 s45, s44, 31
	.loc	1 223 51                        ; fused_moe_aot.py:223:51
	s_cmp_ge_i32 s65, s69
	s_cselect_b64 s[46:47], -1, 0
	.loc	1 223 20 is_stmt 0              ; fused_moe_aot.py:223:20
	s_or_b64 s[46:47], s[54:55], s[46:47]
	.loc	1 176 11 is_stmt 1              ; fused_moe_aot.py:176:11
	v_lshl_add_u64 v[50:51], s[44:45], 1, v[56:57]
	.loc	1 223 20                        ; fused_moe_aot.py:223:20
	s_and_b64 vcc, exec, s[46:47]
	s_cbranch_vccnz .LBB0_33
; %bb.32:
	global_load_ushort v70, v[50:51], off
	s_branch .LBB0_34
.LBB0_33:
	.loc	1 0 20 is_stmt 0                ; fused_moe_aot.py:0:20
	v_mov_b32_e32 v70, 0
.LBB0_34:
	.loc	1 176 29 is_stmt 1              ; fused_moe_aot.py:176:29
	s_mul_i32 s42, s51, 20
	s_add_i32 s46, s0, s42
	.loc	1 129 24                        ; fused_moe_aot.py:129:24
	s_or_b32 s66, s58, 20
	.loc	1 176 41                        ; fused_moe_aot.py:176:41
	s_ashr_i32 s47, s46, 31
	.loc	1 223 51                        ; fused_moe_aot.py:223:51
	s_cmp_ge_i32 s66, s69
	s_cselect_b64 s[48:49], -1, 0
	.loc	1 223 20 is_stmt 0              ; fused_moe_aot.py:223:20
	s_or_b64 s[48:49], s[54:55], s[48:49]
	.loc	1 176 11 is_stmt 1              ; fused_moe_aot.py:176:11
	v_lshl_add_u64 v[52:53], s[46:47], 1, v[56:57]
	.loc	1 223 20                        ; fused_moe_aot.py:223:20
	s_and_b64 vcc, exec, s[48:49]
	s_cbranch_vccnz .LBB0_36
; %bb.35:
	global_load_ushort v71, v[52:53], off
	s_branch .LBB0_37
.LBB0_36:
	.loc	1 0 20 is_stmt 0                ; fused_moe_aot.py:0:20
	v_mov_b32_e32 v71, 0
.LBB0_37:
	.loc	1 176 29 is_stmt 1              ; fused_moe_aot.py:176:29
	s_mul_i32 s42, s51, 24
	s_add_i32 s48, s0, s42
	.loc	1 129 24                        ; fused_moe_aot.py:129:24
	s_or_b32 s67, s58, 24
	.loc	1 176 41                        ; fused_moe_aot.py:176:41
	s_ashr_i32 s49, s48, 31
	.loc	1 223 51                        ; fused_moe_aot.py:223:51
	s_cmp_ge_i32 s67, s69
	s_cselect_b64 s[52:53], -1, 0
	.loc	1 223 20 is_stmt 0              ; fused_moe_aot.py:223:20
	s_or_b64 s[52:53], s[54:55], s[52:53]
	.loc	1 176 11 is_stmt 1              ; fused_moe_aot.py:176:11
	v_lshl_add_u64 v[54:55], s[48:49], 1, v[56:57]
	.loc	1 223 20                        ; fused_moe_aot.py:223:20
	s_and_b64 vcc, exec, s[52:53]
	s_cbranch_vccnz .LBB0_39
; %bb.38:
	global_load_ushort v72, v[54:55], off
	s_branch .LBB0_40
.LBB0_39:
	.loc	1 0 20 is_stmt 0                ; fused_moe_aot.py:0:20
	v_mov_b32_e32 v72, 0
.LBB0_40:
	.loc	1 176 29 is_stmt 1              ; fused_moe_aot.py:176:29
	s_mul_i32 s42, s51, 28
	s_add_i32 s52, s0, s42
	.loc	1 129 24                        ; fused_moe_aot.py:129:24
	s_or_b32 s68, s58, 28
	.loc	1 176 41                        ; fused_moe_aot.py:176:41
	s_ashr_i32 s53, s52, 31
	.loc	1 223 51                        ; fused_moe_aot.py:223:51
	s_cmp_ge_i32 s68, s69
	s_cselect_b64 s[72:73], -1, 0
	.loc	1 223 20 is_stmt 0              ; fused_moe_aot.py:223:20
	s_or_b64 s[54:55], s[54:55], s[72:73]
	.loc	1 176 11 is_stmt 1              ; fused_moe_aot.py:176:11
	v_lshl_add_u64 v[56:57], s[52:53], 1, v[56:57]
	.loc	1 223 20                        ; fused_moe_aot.py:223:20
	s_and_b64 vcc, exec, s[54:55]
	s_cbranch_vccnz .LBB0_42
; %bb.41:
	global_load_ushort v73, v[56:57], off
	s_branch .LBB0_43
.LBB0_42:
	.loc	1 0 20 is_stmt 0                ; fused_moe_aot.py:0:20
	v_mov_b32_e32 v73, 0
.LBB0_43:
	.loc	1 129 24 is_stmt 1              ; fused_moe_aot.py:129:24
	s_and_b32 s61, s61, 64
	s_cmp_eq_u32 s60, 0
	.loc	1 219 12                        ; fused_moe_aot.py:219:12
	v_lshlrev_b32_e32 v19, 1, v19
	s_cselect_b32 s42, 0, 0x110
	v_mov_b32_e32 v21, 0xfe
	v_bitop3_b32 v19, v19, s42, v21 bitop3:0x6c
	v_add_u32_e32 v21, 0, v19
	ds_write_b16 v21, v58
	ds_write_b16 v21, v60 offset:1024
	ds_write_b16 v21, v62 offset:2048
	;; [unrolled: 1-line block ×3, first 2 shown]
	v_xor_b32_e32 v58, 32, v19
	v_add_u32_e32 v58, 0, v58
	ds_write_b16 v58, v59 offset:512
	ds_write_b16 v58, v61 offset:1536
	ds_write_b16 v58, v63 offset:2560
	s_waitcnt vmcnt(0)
	ds_write_b16 v58, v65 offset:3584
	.loc	1 223 20                        ; fused_moe_aot.py:223:20
	ds_write_b16 v21, v66 offset:4096
	ds_write_b16 v21, v70 offset:6144
	;; [unrolled: 1-line block ×4, first 2 shown]
	v_xor_b32_e32 v59, 64, v19
	v_xor_b32_e32 v19, 0x60, v19
	v_add_u32_e32 v59, 0, v59
	v_add_u32_e32 v60, 0, v19
	.loc	1 215 22                        ; fused_moe_aot.py:215:22
	s_cmp_gt_i32 s70, 63
	v_lshlrev_b32_e32 v65, 5, v0
	v_lshlrev_b32_e32 v66, 3, v0
	;; [unrolled: 1-line block ×3, first 2 shown]
	.loc	1 223 20                        ; fused_moe_aot.py:223:20
	ds_write_b16 v59, v68 offset:5120
	ds_write_b16 v59, v72 offset:7168
	ds_write_b16 v60, v69 offset:5632
	ds_write_b16 v60, v73 offset:7680
	.loc	1 215 22                        ; fused_moe_aot.py:215:22
	s_cbranch_scc1 .LBB0_46
; %bb.44:                               ; %.._crit_edge_crit_edge
	.loc	1 223 20                        ; fused_moe_aot.py:223:20
	v_and_b32_e32 v19, 0x580, v65
	v_and_b32_e32 v61, 24, v66
	;; [unrolled: 1-line block ×3, first 2 shown]
	v_bitop3_b32 v19, v19, v62, v61 bitop3:0x36
	v_xor_b32_e32 v61, s61, v19
	v_xor_b32_e32 v62, 0x220, v61
	v_and_b32_e32 v19, 32, v0
	s_cbranch_execz .LBB0_47
; %bb.45:
	.loc	1 0 20 is_stmt 0                ; fused_moe_aot.py:0:20
	v_mov_b32_e32 v17, 0
	v_mov_b32_e32 v16, v17
	;; [unrolled: 1-line block ×16, first 2 shown]
	s_branch .LBB0_116
.LBB0_46:
                                        ; implicit-def: $vgpr61
                                        ; implicit-def: $vgpr62
	v_and_b32_e32 v19, 32, v0
.LBB0_47:                               ; %.lr.ph
	.loc	1 220 62 is_stmt 1              ; fused_moe_aot.py:220:62
	s_sub_i32 s71, s69, 32
	.loc	1 246 33                        ; fused_moe_aot.py:246:33
	s_lshl_b32 s54, s43, 5
	.loc	1 220 58                        ; fused_moe_aot.py:220:58
	v_cmp_gt_u32_e32 vcc, s71, v1
	s_ashr_i32 s55, s54, 31
	.loc	1 220 40 is_stmt 0              ; fused_moe_aot.py:220:40
	s_and_b64 s[72:73], s[24:25], vcc
	v_mov_b32_e32 v76, 0
	v_mov_b32_e32 v77, 0
	.loc	1 219 12 is_stmt 1              ; fused_moe_aot.py:219:12
	s_and_saveexec_b64 s[42:43], s[72:73]
	s_cbranch_execz .LBB0_49
; %bb.48:
	.loc	1 246 18                        ; fused_moe_aot.py:246:18
	v_lshl_add_u64 v[2:3], s[54:55], 1, v[2:3]
	.loc	1 219 12                        ; fused_moe_aot.py:219:12
	global_load_ushort v77, v[2:3], off
.LBB0_49:
	.loc	1 0 12 is_stmt 0                ; fused_moe_aot.py:0:12
	s_or_b64 exec, exec, s[42:43]
	.loc	1 220 40 is_stmt 1              ; fused_moe_aot.py:220:40
	s_and_b64 s[72:73], s[20:21], vcc
	.loc	1 219 12                        ; fused_moe_aot.py:219:12
	s_and_saveexec_b64 s[42:43], s[72:73]
	s_cbranch_execz .LBB0_51
; %bb.50:
	.loc	1 246 18                        ; fused_moe_aot.py:246:18
	v_lshl_add_u64 v[2:3], s[54:55], 1, v[4:5]
	.loc	1 219 12                        ; fused_moe_aot.py:219:12
	global_load_ushort v76, v[2:3], off
.LBB0_51:
	.loc	1 0 12 is_stmt 0                ; fused_moe_aot.py:0:12
	s_or_b64 exec, exec, s[42:43]
	.loc	1 220 40 is_stmt 1              ; fused_moe_aot.py:220:40
	s_and_b64 s[72:73], s[22:23], vcc
	v_mov_b32_e32 v78, 0
	v_mov_b32_e32 v79, 0
	.loc	1 219 12                        ; fused_moe_aot.py:219:12
	s_and_saveexec_b64 s[42:43], s[72:73]
	s_cbranch_execz .LBB0_53
; %bb.52:
	.loc	1 246 18                        ; fused_moe_aot.py:246:18
	v_lshl_add_u64 v[2:3], s[54:55], 1, v[6:7]
	.loc	1 219 12                        ; fused_moe_aot.py:219:12
	global_load_ushort v79, v[2:3], off
.LBB0_53:
	.loc	1 0 12 is_stmt 0                ; fused_moe_aot.py:0:12
	s_or_b64 exec, exec, s[42:43]
	.loc	1 220 40 is_stmt 1              ; fused_moe_aot.py:220:40
	s_and_b64 s[72:73], s[8:9], vcc
	.loc	1 219 12                        ; fused_moe_aot.py:219:12
	s_and_saveexec_b64 s[42:43], s[72:73]
	s_cbranch_execz .LBB0_55
; %bb.54:
	.loc	1 246 18                        ; fused_moe_aot.py:246:18
	v_lshl_add_u64 v[2:3], s[54:55], 1, v[8:9]
	.loc	1 219 12                        ; fused_moe_aot.py:219:12
	global_load_ushort v78, v[2:3], off
.LBB0_55:
	.loc	1 0 12 is_stmt 0                ; fused_moe_aot.py:0:12
	s_or_b64 exec, exec, s[42:43]
	.loc	1 220 40 is_stmt 1              ; fused_moe_aot.py:220:40
	s_and_b64 s[72:73], s[10:11], vcc
	v_mov_b32_e32 v80, 0
	v_mov_b32_e32 v81, 0
	.loc	1 219 12                        ; fused_moe_aot.py:219:12
	;; [unrolled: 28-line block ×3, first 2 shown]
	s_and_saveexec_b64 s[42:43], s[72:73]
	s_cbranch_execz .LBB0_61
; %bb.60:
	.loc	1 246 18                        ; fused_moe_aot.py:246:18
	v_lshl_add_u64 v[2:3], s[54:55], 1, v[14:15]
	.loc	1 219 12                        ; fused_moe_aot.py:219:12
	global_load_ushort v83, v[2:3], off
.LBB0_61:
	.loc	1 0 12 is_stmt 0                ; fused_moe_aot.py:0:12
	s_or_b64 exec, exec, s[42:43]
	.loc	1 220 40 is_stmt 1              ; fused_moe_aot.py:220:40
	s_and_b64 s[72:73], s[18:19], vcc
	.loc	1 219 12                        ; fused_moe_aot.py:219:12
	s_and_saveexec_b64 s[42:43], s[72:73]
	s_cbranch_execz .LBB0_63
; %bb.62:
	.loc	1 246 18                        ; fused_moe_aot.py:246:18
	v_lshl_add_u64 v[2:3], s[54:55], 1, v[16:17]
	.loc	1 219 12                        ; fused_moe_aot.py:219:12
	global_load_ushort v82, v[2:3], off
.LBB0_63:
	.loc	1 0 12 is_stmt 0                ; fused_moe_aot.py:0:12
	s_or_b64 exec, exec, s[42:43]
	v_lshlrev_b32_e32 v2, 6, v1
	v_lshlrev_b32_e32 v3, 2, v0
	v_lshrrev_b32_e32 v4, 1, v19
	v_lshl_or_b32 v2, s60, 4, v2
	v_bitop3_b32 v3, v3, v4, 48 bitop3:0x6c
	v_or_b32_e32 v4, v2, v3
	v_bitop3_b32 v2, v2, 32, v3 bitop3:0x36
	.loc	1 219 12                        ; fused_moe_aot.py:219:12
	v_add_u32_e32 v63, 0, v4
	s_waitcnt lgkmcnt(0)
	s_barrier
	v_add_u32_e32 v64, 0, v2
	ds_read_b128 v[72:75], v63
	ds_read_b128 v[68:71], v64
	.loc	1 247 33 is_stmt 1              ; fused_moe_aot.py:247:33
	s_lshl_b32 s50, s51, 5
	s_ashr_i32 s51, s50, 31
	.loc	1 223 51                        ; fused_moe_aot.py:223:51
	s_cmp_ge_u32 s58, s71
	.loc	1 223 20 is_stmt 0              ; fused_moe_aot.py:223:20
	s_cbranch_scc1 .LBB0_72
; %bb.64:
	.loc	1 247 18 is_stmt 1              ; fused_moe_aot.py:247:18
	v_lshl_add_u64 v[2:3], s[50:51], 1, v[42:43]
	.loc	1 223 20                        ; fused_moe_aot.py:223:20
	global_load_ushort v84, v[2:3], off
	.loc	1 223 51 is_stmt 0              ; fused_moe_aot.py:223:51
	s_cmp_ge_u32 s62, s71
	.loc	1 223 20                        ; fused_moe_aot.py:223:20
	s_cbranch_scc0 .LBB0_73
.LBB0_65:
	.loc	1 0 20                          ; fused_moe_aot.py:0:20
	v_mov_b32_e32 v44, 0
	.loc	1 223 51                        ; fused_moe_aot.py:223:51
	s_cmp_ge_u32 s63, s71
	.loc	1 223 20                        ; fused_moe_aot.py:223:20
	s_cbranch_scc0 .LBB0_74
.LBB0_66:
	.loc	1 0 20                          ; fused_moe_aot.py:0:20
	v_mov_b32_e32 v45, 0
	.loc	1 223 51                        ; fused_moe_aot.py:223:51
	s_cmp_ge_u32 s64, s71
	.loc	1 223 20                        ; fused_moe_aot.py:223:20
	s_cbranch_scc0 .LBB0_75
.LBB0_67:
	.loc	1 0 20                          ; fused_moe_aot.py:0:20
	v_mov_b32_e32 v46, 0
	.loc	1 223 51                        ; fused_moe_aot.py:223:51
	s_cmp_ge_u32 s65, s71
	.loc	1 223 20                        ; fused_moe_aot.py:223:20
	s_cbranch_scc0 .LBB0_76
.LBB0_68:
	.loc	1 0 20                          ; fused_moe_aot.py:0:20
	v_mov_b32_e32 v47, 0
	.loc	1 223 51                        ; fused_moe_aot.py:223:51
	s_cmp_ge_u32 s66, s71
	.loc	1 223 20                        ; fused_moe_aot.py:223:20
	s_cbranch_scc0 .LBB0_77
.LBB0_69:
	.loc	1 0 20                          ; fused_moe_aot.py:0:20
	v_mov_b32_e32 v48, 0
	.loc	1 223 51                        ; fused_moe_aot.py:223:51
	s_cmp_ge_u32 s67, s71
	.loc	1 223 20                        ; fused_moe_aot.py:223:20
	s_cbranch_scc0 .LBB0_78
.LBB0_70:
	.loc	1 0 20                          ; fused_moe_aot.py:0:20
	v_mov_b32_e32 v49, 0
	.loc	1 223 51                        ; fused_moe_aot.py:223:51
	s_cmp_ge_u32 s68, s71
	.loc	1 223 20                        ; fused_moe_aot.py:223:20
	s_cbranch_scc0 .LBB0_79
.LBB0_71:
	.loc	1 0 20                          ; fused_moe_aot.py:0:20
	v_mov_b32_e32 v50, 0
	.loc	1 223 20                        ; fused_moe_aot.py:223:20
	s_branch .LBB0_80
.LBB0_72:
	.loc	1 0 20                          ; fused_moe_aot.py:0:20
	v_mov_b32_e32 v84, 0
	.loc	1 223 51                        ; fused_moe_aot.py:223:51
	s_cmp_ge_u32 s62, s71
	.loc	1 223 20                        ; fused_moe_aot.py:223:20
	s_cbranch_scc1 .LBB0_65
.LBB0_73:
	.loc	1 247 18 is_stmt 1              ; fused_moe_aot.py:247:18
	v_lshl_add_u64 v[2:3], s[50:51], 1, v[44:45]
	.loc	1 223 20                        ; fused_moe_aot.py:223:20
	global_load_ushort v44, v[2:3], off
	.loc	1 223 51 is_stmt 0              ; fused_moe_aot.py:223:51
	s_cmp_ge_u32 s63, s71
	.loc	1 223 20                        ; fused_moe_aot.py:223:20
	s_cbranch_scc1 .LBB0_66
.LBB0_74:
	.loc	1 247 18 is_stmt 1              ; fused_moe_aot.py:247:18
	v_lshl_add_u64 v[2:3], s[50:51], 1, v[46:47]
	.loc	1 223 20                        ; fused_moe_aot.py:223:20
	global_load_ushort v45, v[2:3], off
	.loc	1 223 51 is_stmt 0              ; fused_moe_aot.py:223:51
	s_cmp_ge_u32 s64, s71
	.loc	1 223 20                        ; fused_moe_aot.py:223:20
	s_cbranch_scc1 .LBB0_67
.LBB0_75:
	.loc	1 247 18 is_stmt 1              ; fused_moe_aot.py:247:18
	v_lshl_add_u64 v[2:3], s[50:51], 1, v[48:49]
	.loc	1 223 20                        ; fused_moe_aot.py:223:20
	global_load_ushort v46, v[2:3], off
	.loc	1 223 51 is_stmt 0              ; fused_moe_aot.py:223:51
	s_cmp_ge_u32 s65, s71
	.loc	1 223 20                        ; fused_moe_aot.py:223:20
	s_cbranch_scc1 .LBB0_68
.LBB0_76:
	.loc	1 247 18 is_stmt 1              ; fused_moe_aot.py:247:18
	v_lshl_add_u64 v[2:3], s[50:51], 1, v[50:51]
	.loc	1 223 20                        ; fused_moe_aot.py:223:20
	global_load_ushort v47, v[2:3], off
	.loc	1 223 51 is_stmt 0              ; fused_moe_aot.py:223:51
	s_cmp_ge_u32 s66, s71
	.loc	1 223 20                        ; fused_moe_aot.py:223:20
	s_cbranch_scc1 .LBB0_69
.LBB0_77:
	.loc	1 247 18 is_stmt 1              ; fused_moe_aot.py:247:18
	v_lshl_add_u64 v[2:3], s[50:51], 1, v[52:53]
	.loc	1 223 20                        ; fused_moe_aot.py:223:20
	global_load_ushort v48, v[2:3], off
	.loc	1 223 51 is_stmt 0              ; fused_moe_aot.py:223:51
	s_cmp_ge_u32 s67, s71
	.loc	1 223 20                        ; fused_moe_aot.py:223:20
	s_cbranch_scc1 .LBB0_70
.LBB0_78:
	.loc	1 247 18 is_stmt 1              ; fused_moe_aot.py:247:18
	v_lshl_add_u64 v[2:3], s[50:51], 1, v[54:55]
	.loc	1 223 20                        ; fused_moe_aot.py:223:20
	global_load_ushort v49, v[2:3], off
	.loc	1 223 51 is_stmt 0              ; fused_moe_aot.py:223:51
	s_cmp_ge_u32 s68, s71
	.loc	1 223 20                        ; fused_moe_aot.py:223:20
	s_cbranch_scc1 .LBB0_71
.LBB0_79:
	.loc	1 247 18 is_stmt 1              ; fused_moe_aot.py:247:18
	v_lshl_add_u64 v[2:3], s[50:51], 1, v[56:57]
	.loc	1 223 20                        ; fused_moe_aot.py:223:20
	global_load_ushort v50, v[2:3], off
.LBB0_80:
	.loc	1 0 20 is_stmt 0                ; fused_moe_aot.py:0:20
	v_and_b32_e32 v2, 0x580, v65
	v_and_b32_e32 v3, 24, v66
	;; [unrolled: 1-line block ×3, first 2 shown]
	v_bitop3_b32 v2, v2, v4, v3 bitop3:0x36
	v_xor_b32_e32 v61, s61, v2
	.loc	1 223 20                        ; fused_moe_aot.py:223:20
	v_add_u32_e32 v42, 0, v61
	v_xor_b32_e32 v2, 32, v61
	v_add_u32_e32 v43, 0, v2
	ds_read_b64_tr_b16 v[52:53], v42 offset:4096
	ds_read_b64_tr_b16 v[54:55], v43 offset:4608
	.loc	1 244 37 is_stmt 1              ; fused_moe_aot.py:244:37
	s_waitcnt lgkmcnt(0)
	v_mfma_f32_32x32x16_f16 v[2:17], v[52:55], v[72:75], 0
	.loc	1 223 20                        ; fused_moe_aot.py:223:20
	ds_read_b64_tr_b16 v[86:87], v42 offset:6144
	ds_read_b64_tr_b16 v[88:89], v43 offset:6656
.Ltmp12:
	.loc	2 43 30                         ; standard.py:43:30 @[ fused_moe_aot.py:215:33 ]
	s_ashr_i32 s42, s70, 31
	s_lshr_b32 s42, s42, 27
	s_add_i32 s70, s70, s42
	s_ashr_i32 s42, s70, 5
.Ltmp13:
	.loc	1 215 22                        ; fused_moe_aot.py:215:22
	s_max_i32 s70, s42, 2
	v_xor_b32_e32 v62, 0x220, v61
	.loc	1 244 37                        ; fused_moe_aot.py:244:37
	s_waitcnt lgkmcnt(0)
	v_mfma_f32_32x32x16_f16 v[2:17], v[86:89], v[68:71], v[2:17]
	.loc	1 215 22                        ; fused_moe_aot.py:215:22
	s_cmp_eq_u32 s70, 2
	.loc	1 219 12                        ; fused_moe_aot.py:219:12
	s_waitcnt lgkmcnt(0)
	s_barrier
	s_waitcnt vmcnt(0)
	ds_write_b16 v21, v77
	ds_write_b16 v21, v79 offset:1024
	ds_write_b16 v21, v81 offset:2048
	;; [unrolled: 1-line block ×7, first 2 shown]
	.loc	1 223 20                        ; fused_moe_aot.py:223:20
	ds_write_b16 v21, v84 offset:4096
	ds_write_b16 v21, v47 offset:6144
	ds_write_b16 v58, v44 offset:4608
	ds_write_b16 v58, v48 offset:6656
	ds_write_b16 v59, v45 offset:5120
	ds_write_b16 v59, v49 offset:7168
	ds_write_b16 v60, v46 offset:5632
	ds_write_b16 v60, v50 offset:7680
	.loc	1 215 22                        ; fused_moe_aot.py:215:22
	s_cbranch_scc1 .LBB0_116
; %bb.81:                               ; %.peel.next
	s_lshl_b64 s[42:43], s[52:53], 1
	s_lshl_b64 s[52:53], s[50:51], 2
	s_add_u32 s4, s4, s52
	s_addc_u32 s5, s5, s53
	s_add_u32 s4, s4, s34
	s_addc_u32 s5, s5, s35
	v_lshl_add_u64 v[40:41], v[40:41], 1, s[4:5]
	s_lshl_b64 s[4:5], s[50:51], 1
	s_lshl_b64 s[34:35], s[48:49], 1
	;; [unrolled: 1-line block ×9, first 2 shown]
	s_add_u32 s48, s2, s48
	s_addc_u32 s49, s3, s49
	v_lshlrev_b64 v[22:23], 1, v[22:23]
	v_lshl_add_u64 v[38:39], v[38:39], 1, s[48:49]
	s_lshl_b64 s[2:3], s[54:55], 1
	v_lshl_add_u64 v[36:37], v[36:37], 1, s[48:49]
	v_lshl_add_u64 v[34:35], v[34:35], 1, s[48:49]
	;; [unrolled: 1-line block ×7, first 2 shown]
	s_add_i32 s50, s70, -2
	s_sub_i32 s51, s69, 64
	s_branch .LBB0_84
.LBB0_82:                               ;   in Loop: Header=BB0_84 Depth=1
	.loc	1 215 22                        ; fused_moe_aot.py:215:22
	v_lshl_add_u64 v[74:75], v[40:41], 0, s[42:43]
	.loc	1 223 20                        ; fused_moe_aot.py:223:20
	global_load_ushort v74, v[74:75], off
.LBB0_83:                               ;   in Loop: Header=BB0_84 Depth=1
	ds_read_b64_tr_b16 v[76:77], v42 offset:4096
	ds_read_b64_tr_b16 v[78:79], v43 offset:4608
	;; [unrolled: 1-line block ×4, first 2 shown]
	.loc	1 215 22                        ; fused_moe_aot.py:215:22
	s_add_i32 s50, s50, -1
	s_sub_i32 s51, s51, 32
	.loc	1 244 37                        ; fused_moe_aot.py:244:37
	s_waitcnt lgkmcnt(2)
	v_mfma_f32_32x32x16_f16 v[2:17], v[76:79], v[48:51], v[2:17]
	.loc	1 215 22                        ; fused_moe_aot.py:215:22
	v_lshl_add_u64 v[40:41], v[40:41], 0, s[4:5]
	v_lshl_add_u64 v[38:39], v[38:39], 0, s[2:3]
	;; [unrolled: 1-line block ×7, first 2 shown]
	.loc	1 244 37                        ; fused_moe_aot.py:244:37
	s_waitcnt lgkmcnt(0)
	v_mfma_f32_32x32x16_f16 v[2:17], v[80:83], v[44:47], v[2:17]
	.loc	1 215 22                        ; fused_moe_aot.py:215:22
	v_lshl_add_u64 v[26:27], v[26:27], 0, s[2:3]
	s_cmp_lg_u32 s50, 0
	v_lshl_add_u64 v[24:25], v[24:25], 0, s[2:3]
	.loc	1 219 12                        ; fused_moe_aot.py:219:12
	s_waitcnt lgkmcnt(0)
	s_barrier
	s_waitcnt vmcnt(0)
	ds_write_b16 v21, v53
	ds_write_b16 v21, v55 offset:1024
	ds_write_b16 v21, v57 offset:2048
	;; [unrolled: 1-line block ×7, first 2 shown]
	.loc	1 223 20                        ; fused_moe_aot.py:223:20
	ds_write_b16 v21, v67 offset:4096
	ds_write_b16 v21, v71 offset:6144
	;; [unrolled: 1-line block ×8, first 2 shown]
	.loc	1 215 22                        ; fused_moe_aot.py:215:22
	s_cbranch_scc0 .LBB0_116
.LBB0_84:                               ; =>This Inner Loop Header: Depth=1
	.loc	1 220 58                        ; fused_moe_aot.py:220:58
	v_cmp_gt_i32_e32 vcc, s51, v1
	.loc	1 220 40 is_stmt 0              ; fused_moe_aot.py:220:40
	s_and_b64 s[52:53], s[24:25], vcc
	v_mov_b32_e32 v52, 0
	v_mov_b32_e32 v53, 0
	.loc	1 219 12 is_stmt 1              ; fused_moe_aot.py:219:12
	s_and_saveexec_b64 s[48:49], s[52:53]
	s_cbranch_execz .LBB0_86
; %bb.85:                               ;   in Loop: Header=BB0_84 Depth=1
	.loc	1 246 18                        ; fused_moe_aot.py:246:18
	v_lshl_add_u64 v[44:45], v[24:25], 0, v[22:23]
	.loc	1 219 12                        ; fused_moe_aot.py:219:12
	global_load_ushort v53, v[44:45], off
.LBB0_86:                               ;   in Loop: Header=BB0_84 Depth=1
	.loc	1 0 12 is_stmt 0                ; fused_moe_aot.py:0:12
	s_or_b64 exec, exec, s[48:49]
	.loc	1 220 40 is_stmt 1              ; fused_moe_aot.py:220:40
	s_and_b64 s[52:53], s[20:21], vcc
	.loc	1 219 12                        ; fused_moe_aot.py:219:12
	s_and_saveexec_b64 s[48:49], s[52:53]
	s_cbranch_execz .LBB0_88
; %bb.87:                               ;   in Loop: Header=BB0_84 Depth=1
	.loc	1 246 18                        ; fused_moe_aot.py:246:18
	v_lshl_add_u64 v[44:45], v[26:27], 0, v[22:23]
	.loc	1 219 12                        ; fused_moe_aot.py:219:12
	global_load_ushort v52, v[44:45], off
.LBB0_88:                               ;   in Loop: Header=BB0_84 Depth=1
	.loc	1 0 12 is_stmt 0                ; fused_moe_aot.py:0:12
	s_or_b64 exec, exec, s[48:49]
	.loc	1 220 40 is_stmt 1              ; fused_moe_aot.py:220:40
	s_and_b64 s[52:53], s[22:23], vcc
	v_mov_b32_e32 v54, 0
	v_mov_b32_e32 v55, 0
	.loc	1 219 12                        ; fused_moe_aot.py:219:12
	s_and_saveexec_b64 s[48:49], s[52:53]
	s_cbranch_execz .LBB0_90
; %bb.89:                               ;   in Loop: Header=BB0_84 Depth=1
	.loc	1 246 18                        ; fused_moe_aot.py:246:18
	v_lshl_add_u64 v[44:45], v[28:29], 0, v[22:23]
	.loc	1 219 12                        ; fused_moe_aot.py:219:12
	global_load_ushort v55, v[44:45], off
.LBB0_90:                               ;   in Loop: Header=BB0_84 Depth=1
	.loc	1 0 12 is_stmt 0                ; fused_moe_aot.py:0:12
	s_or_b64 exec, exec, s[48:49]
	.loc	1 220 40 is_stmt 1              ; fused_moe_aot.py:220:40
	s_and_b64 s[52:53], s[8:9], vcc
	.loc	1 219 12                        ; fused_moe_aot.py:219:12
	s_and_saveexec_b64 s[48:49], s[52:53]
	s_cbranch_execz .LBB0_92
; %bb.91:                               ;   in Loop: Header=BB0_84 Depth=1
	.loc	1 246 18                        ; fused_moe_aot.py:246:18
	v_lshl_add_u64 v[44:45], v[30:31], 0, v[22:23]
	.loc	1 219 12                        ; fused_moe_aot.py:219:12
	global_load_ushort v54, v[44:45], off
.LBB0_92:                               ;   in Loop: Header=BB0_84 Depth=1
	.loc	1 0 12 is_stmt 0                ; fused_moe_aot.py:0:12
	s_or_b64 exec, exec, s[48:49]
	.loc	1 220 40 is_stmt 1              ; fused_moe_aot.py:220:40
	s_and_b64 s[52:53], s[10:11], vcc
	v_mov_b32_e32 v56, 0
	v_mov_b32_e32 v57, 0
	.loc	1 219 12                        ; fused_moe_aot.py:219:12
	;; [unrolled: 28-line block ×3, first 2 shown]
	s_and_saveexec_b64 s[48:49], s[52:53]
	s_cbranch_execz .LBB0_98
; %bb.97:                               ;   in Loop: Header=BB0_84 Depth=1
	.loc	1 246 18                        ; fused_moe_aot.py:246:18
	v_lshl_add_u64 v[44:45], v[36:37], 0, v[22:23]
	.loc	1 219 12                        ; fused_moe_aot.py:219:12
	global_load_ushort v66, v[44:45], off
.LBB0_98:                               ;   in Loop: Header=BB0_84 Depth=1
	.loc	1 0 12 is_stmt 0                ; fused_moe_aot.py:0:12
	s_or_b64 exec, exec, s[48:49]
	.loc	1 220 40 is_stmt 1              ; fused_moe_aot.py:220:40
	s_and_b64 s[52:53], s[18:19], vcc
	.loc	1 219 12                        ; fused_moe_aot.py:219:12
	s_and_saveexec_b64 s[48:49], s[52:53]
	s_cbranch_execz .LBB0_100
; %bb.99:                               ;   in Loop: Header=BB0_84 Depth=1
	.loc	1 247 18                        ; fused_moe_aot.py:247:18
	v_lshl_add_u64 v[44:45], v[38:39], 0, v[22:23]
	.loc	1 219 12                        ; fused_moe_aot.py:219:12
	global_load_ushort v65, v[44:45], off
.LBB0_100:                              ;   in Loop: Header=BB0_84 Depth=1
	.loc	1 0 12 is_stmt 0                ; fused_moe_aot.py:0:12
	s_or_b64 exec, exec, s[48:49]
	.loc	1 219 12                        ; fused_moe_aot.py:219:12
	s_waitcnt lgkmcnt(0)
	s_barrier
	ds_read_b128 v[48:51], v63
	ds_read_b128 v[44:47], v64
	.loc	1 223 51 is_stmt 1              ; fused_moe_aot.py:223:51
	s_cmp_ge_i32 s58, s51
	.loc	1 223 20 is_stmt 0              ; fused_moe_aot.py:223:20
	s_cbranch_scc1 .LBB0_108
; %bb.101:                              ;   in Loop: Header=BB0_84 Depth=1
	.loc	1 247 18 is_stmt 1              ; fused_moe_aot.py:247:18
	v_lshl_add_u64 v[68:69], v[40:41], 0, s[0:1]
	.loc	1 223 20                        ; fused_moe_aot.py:223:20
	global_load_ushort v67, v[68:69], off
	.loc	1 223 51 is_stmt 0              ; fused_moe_aot.py:223:51
	s_cmp_ge_i32 s62, s51
	.loc	1 223 20                        ; fused_moe_aot.py:223:20
	s_cbranch_scc0 .LBB0_109
.LBB0_102:                              ;   in Loop: Header=BB0_84 Depth=1
	.loc	1 0 20                          ; fused_moe_aot.py:0:20
	v_mov_b32_e32 v68, 0
	.loc	1 223 51                        ; fused_moe_aot.py:223:51
	s_cmp_ge_i32 s63, s51
	.loc	1 223 20                        ; fused_moe_aot.py:223:20
	s_cbranch_scc0 .LBB0_110
.LBB0_103:                              ;   in Loop: Header=BB0_84 Depth=1
	.loc	1 0 20                          ; fused_moe_aot.py:0:20
	v_mov_b32_e32 v69, 0
	.loc	1 223 51                        ; fused_moe_aot.py:223:51
	s_cmp_ge_i32 s64, s51
	.loc	1 223 20                        ; fused_moe_aot.py:223:20
	s_cbranch_scc0 .LBB0_111
.LBB0_104:                              ;   in Loop: Header=BB0_84 Depth=1
	.loc	1 0 20                          ; fused_moe_aot.py:0:20
	v_mov_b32_e32 v70, 0
	.loc	1 223 51                        ; fused_moe_aot.py:223:51
	s_cmp_ge_i32 s65, s51
	.loc	1 223 20                        ; fused_moe_aot.py:223:20
	s_cbranch_scc0 .LBB0_112
.LBB0_105:                              ;   in Loop: Header=BB0_84 Depth=1
	.loc	1 0 20                          ; fused_moe_aot.py:0:20
	v_mov_b32_e32 v71, 0
	.loc	1 223 51                        ; fused_moe_aot.py:223:51
	s_cmp_ge_i32 s66, s51
	.loc	1 223 20                        ; fused_moe_aot.py:223:20
	s_cbranch_scc0 .LBB0_113
.LBB0_106:                              ;   in Loop: Header=BB0_84 Depth=1
	.loc	1 0 20                          ; fused_moe_aot.py:0:20
	v_mov_b32_e32 v72, 0
	.loc	1 223 51                        ; fused_moe_aot.py:223:51
	s_cmp_ge_i32 s67, s51
	.loc	1 223 20                        ; fused_moe_aot.py:223:20
	s_cbranch_scc0 .LBB0_114
.LBB0_107:                              ;   in Loop: Header=BB0_84 Depth=1
	.loc	1 0 20                          ; fused_moe_aot.py:0:20
	v_mov_b32_e32 v73, 0
	.loc	1 223 51                        ; fused_moe_aot.py:223:51
	s_cmp_ge_i32 s68, s51
	.loc	1 223 20                        ; fused_moe_aot.py:223:20
	s_cbranch_scc0 .LBB0_82
	s_branch .LBB0_115
.LBB0_108:                              ;   in Loop: Header=BB0_84 Depth=1
	.loc	1 0 20                          ; fused_moe_aot.py:0:20
	v_mov_b32_e32 v67, 0
	.loc	1 223 51                        ; fused_moe_aot.py:223:51
	s_cmp_ge_i32 s62, s51
	.loc	1 223 20                        ; fused_moe_aot.py:223:20
	s_cbranch_scc1 .LBB0_102
.LBB0_109:                              ;   in Loop: Header=BB0_84 Depth=1
	.loc	1 247 18 is_stmt 1              ; fused_moe_aot.py:247:18
	v_lshl_add_u64 v[68:69], v[40:41], 0, s[36:37]
	.loc	1 223 20                        ; fused_moe_aot.py:223:20
	global_load_ushort v68, v[68:69], off
	.loc	1 223 51 is_stmt 0              ; fused_moe_aot.py:223:51
	s_cmp_ge_i32 s63, s51
	.loc	1 223 20                        ; fused_moe_aot.py:223:20
	s_cbranch_scc1 .LBB0_103
.LBB0_110:                              ;   in Loop: Header=BB0_84 Depth=1
	.loc	1 247 18 is_stmt 1              ; fused_moe_aot.py:247:18
	v_lshl_add_u64 v[70:71], v[40:41], 0, s[38:39]
	.loc	1 223 20                        ; fused_moe_aot.py:223:20
	global_load_ushort v69, v[70:71], off
	.loc	1 223 51 is_stmt 0              ; fused_moe_aot.py:223:51
	s_cmp_ge_i32 s64, s51
	.loc	1 223 20                        ; fused_moe_aot.py:223:20
	s_cbranch_scc1 .LBB0_104
.LBB0_111:                              ;   in Loop: Header=BB0_84 Depth=1
	.loc	1 247 18 is_stmt 1              ; fused_moe_aot.py:247:18
	v_lshl_add_u64 v[70:71], v[40:41], 0, s[40:41]
	.loc	1 223 20                        ; fused_moe_aot.py:223:20
	global_load_ushort v70, v[70:71], off
	.loc	1 223 51 is_stmt 0              ; fused_moe_aot.py:223:51
	s_cmp_ge_i32 s65, s51
	.loc	1 223 20                        ; fused_moe_aot.py:223:20
	s_cbranch_scc1 .LBB0_105
.LBB0_112:                              ;   in Loop: Header=BB0_84 Depth=1
	.loc	1 247 18 is_stmt 1              ; fused_moe_aot.py:247:18
	v_lshl_add_u64 v[72:73], v[40:41], 0, s[44:45]
	.loc	1 223 20                        ; fused_moe_aot.py:223:20
	global_load_ushort v71, v[72:73], off
	.loc	1 223 51 is_stmt 0              ; fused_moe_aot.py:223:51
	s_cmp_ge_i32 s66, s51
	.loc	1 223 20                        ; fused_moe_aot.py:223:20
	s_cbranch_scc1 .LBB0_106
.LBB0_113:                              ;   in Loop: Header=BB0_84 Depth=1
	.loc	1 247 18 is_stmt 1              ; fused_moe_aot.py:247:18
	v_lshl_add_u64 v[72:73], v[40:41], 0, s[46:47]
	.loc	1 223 20                        ; fused_moe_aot.py:223:20
	global_load_ushort v72, v[72:73], off
	.loc	1 223 51 is_stmt 0              ; fused_moe_aot.py:223:51
	s_cmp_ge_i32 s67, s51
	.loc	1 223 20                        ; fused_moe_aot.py:223:20
	s_cbranch_scc1 .LBB0_107
.LBB0_114:                              ;   in Loop: Header=BB0_84 Depth=1
	.loc	1 247 18 is_stmt 1              ; fused_moe_aot.py:247:18
	v_lshl_add_u64 v[74:75], v[40:41], 0, s[34:35]
	.loc	1 223 20                        ; fused_moe_aot.py:223:20
	global_load_ushort v73, v[74:75], off
	.loc	1 223 51 is_stmt 0              ; fused_moe_aot.py:223:51
	s_cmp_ge_i32 s68, s51
	.loc	1 223 20                        ; fused_moe_aot.py:223:20
	s_cbranch_scc0 .LBB0_82
.LBB0_115:                              ;   in Loop: Header=BB0_84 Depth=1
	.loc	1 0 20                          ; fused_moe_aot.py:0:20
	v_mov_b32_e32 v74, 0
	.loc	1 223 20                        ; fused_moe_aot.py:223:20
	s_branch .LBB0_83
.LBB0_116:                              ; %._crit_edge
	.loc	1 223 20 is_stmt 1              ; fused_moe_aot.py:223:20
	v_add_u32_e32 v21, 0, v61
	v_add_u32_e32 v24, 0, v62
	.loc	1 219 12                        ; fused_moe_aot.py:219:12
	s_waitcnt lgkmcnt(0)
	s_barrier
	.loc	1 223 20                        ; fused_moe_aot.py:223:20
	ds_read_b64_tr_b16 v[26:27], v21 offset:4096
	ds_read_b64_tr_b16 v[22:23], v21 offset:6144
	;; [unrolled: 1-line block ×4, first 2 shown]
	.loc	1 244 37                        ; fused_moe_aot.py:244:37
	s_andn2_b64 vcc, exec, s[30:31]
	s_cbranch_vccnz .LBB0_118
; %bb.117:
	.loc	1 219 12                        ; fused_moe_aot.py:219:12
	v_lshlrev_b32_e32 v0, 2, v0
	v_lshrrev_b32_e32 v21, 1, v19
	v_lshlrev_b32_e32 v1, 6, v1
	s_lshl_b32 s0, s60, 4
	v_bitop3_b32 v0, v0, v21, 48 bitop3:0x6c
	v_or3_b32 v0, s0, v1, v0
	v_add_u32_e32 v1, 0, v0
	ds_read_b128 v[30:33], v1
	v_xad_u32 v0, v0, 32, 0
	.loc	1 244 37                        ; fused_moe_aot.py:244:37
	s_waitcnt lgkmcnt(0)
	v_mfma_f32_32x32x16_f16 v[2:17], v[26:29], v[30:33], v[2:17]
	.loc	1 219 12                        ; fused_moe_aot.py:219:12
	ds_read_b128 v[26:29], v0
	.loc	1 244 37                        ; fused_moe_aot.py:244:37
	s_waitcnt lgkmcnt(0)
	v_mfma_f32_32x32x16_f16 v[2:17], v[22:25], v[26:29], v[2:17]
.LBB0_118:                              ; %._crit_edge._crit_edge
	.loc	1 144 31                        ; fused_moe_aot.py:144:31
	v_ashrrev_i32_e32 v21, 31, v20
	.loc	1 146 30                        ; fused_moe_aot.py:146:30
	v_cmp_gt_i32_e32 vcc, s33, v20
	v_mov_b32_e32 v0, 0
	.loc	1 272 12                        ; fused_moe_aot.py:272:12
	s_and_saveexec_b64 s[0:1], vcc
	s_cbranch_execz .LBB0_120
; %bb.119:
	.loc	1 0 12 is_stmt 0                ; fused_moe_aot.py:0:12
	v_lshl_add_u64 v[0:1], v[20:21], 2, s[14:15]
	.loc	1 272 12                        ; fused_moe_aot.py:272:12
	global_load_dword v0, v[0:1], off
.LBB0_120:
	.loc	1 0 12                          ; fused_moe_aot.py:0:12
	s_or_b64 exec, exec, s[0:1]
	.loc	1 129 24 is_stmt 1              ; fused_moe_aot.py:129:24
	v_lshrrev_b32_e32 v1, 2, v19
	s_lshr_b32 s0, s61, 1
	v_or_b32_e32 v19, s0, v1
	.loc	1 276 23                        ; fused_moe_aot.py:276:23
	s_waitcnt vmcnt(0)
	v_mov_b32_e32 v1, v0
	s_nop 0
	v_pk_mul_f32 v[2:3], v[2:3], v[0:1]
	v_pk_mul_f32 v[4:5], v[4:5], v[0:1]
	;; [unrolled: 1-line block ×3, first 2 shown]
	s_waitcnt lgkmcnt(2)
	v_pk_mul_f32 v[22:23], v[8:9], v[0:1]
	s_waitcnt lgkmcnt(0)
	v_pk_mul_f32 v[24:25], v[10:11], v[0:1]
	v_pk_mul_f32 v[12:13], v[12:13], v[0:1]
	;; [unrolled: 1-line block ×4, first 2 shown]
	.loc	1 280 33                        ; fused_moe_aot.py:280:33
	v_cvt_pk_f16_f32 v10, v2, v3
	v_cvt_pk_f16_f32 v2, v0, v1
	.loc	1 284 37                        ; fused_moe_aot.py:284:37
	v_or_b32_e32 v3, s59, v19
	.loc	1 285 33                        ; fused_moe_aot.py:285:33
	v_mad_i64_i32 v[0:1], s[0:1], v20, s26, 0
	.loc	1 280 33                        ; fused_moe_aot.py:280:33
	v_cvt_pk_f16_f32 v9, v4, v5
	v_cvt_pk_f16_f32 v8, v6, v7
	;; [unrolled: 1-line block ×6, first 2 shown]
	.loc	1 286 55                        ; fused_moe_aot.py:286:55
	v_cmp_gt_i32_e64 s[0:1], s56, v3
	.loc	1 285 21                        ; fused_moe_aot.py:285:21
	v_lshl_add_u64 v[0:1], v[0:1], 1, s[6:7]
	.loc	1 286 36                        ; fused_moe_aot.py:286:36
	s_and_b64 s[2:3], s[0:1], vcc
	.loc	1 280 33                        ; fused_moe_aot.py:280:33
	v_permlane32_swap_b32_e32 v10, v8
	v_permlane32_swap_b32_e32 v9, v7
	;; [unrolled: 1-line block ×4, first 2 shown]
	.loc	1 287 21                        ; fused_moe_aot.py:287:21
	s_and_saveexec_b64 s[0:1], s[2:3]
	s_cbranch_execz .LBB0_122
; %bb.121:
	.loc	1 0 21 is_stmt 0                ; fused_moe_aot.py:0:21
	v_mul_lo_u32 v12, v3, s27
	v_ashrrev_i32_e32 v13, 31, v12
	v_lshl_add_u64 v[12:13], v[12:13], 1, v[0:1]
	.loc	1 287 21                        ; fused_moe_aot.py:287:21
	global_store_short v[12:13], v10, off
.LBB0_122:
	.loc	1 0 21                          ; fused_moe_aot.py:0:21
	s_or_b64 exec, exec, s[0:1]
	.loc	1 284 37 is_stmt 1              ; fused_moe_aot.py:284:37
	v_or_b32_e32 v11, 1, v3
	.loc	1 286 55                        ; fused_moe_aot.py:286:55
	v_cmp_gt_i32_e64 s[0:1], s56, v11
	.loc	1 286 36 is_stmt 0              ; fused_moe_aot.py:286:36
	s_and_b64 s[2:3], s[0:1], vcc
	.loc	1 287 21 is_stmt 1              ; fused_moe_aot.py:287:21
	s_and_saveexec_b64 s[0:1], s[2:3]
	s_cbranch_execz .LBB0_124
; %bb.123:
	.loc	1 285 67                        ; fused_moe_aot.py:285:67
	v_mul_lo_u32 v12, v11, s27
	.loc	1 285 55 is_stmt 0              ; fused_moe_aot.py:285:55
	v_ashrrev_i32_e32 v13, 31, v12
	v_lshl_add_u64 v[12:13], v[12:13], 1, v[0:1]
	.loc	1 287 21 is_stmt 1              ; fused_moe_aot.py:287:21
	global_store_short_d16_hi v[12:13], v10, off
.LBB0_124:
	.loc	1 0 21 is_stmt 0                ; fused_moe_aot.py:0:21
	s_or_b64 exec, exec, s[0:1]
	.loc	1 284 37 is_stmt 1              ; fused_moe_aot.py:284:37
	v_or_b32_e32 v10, 2, v3
	.loc	1 286 55                        ; fused_moe_aot.py:286:55
	v_cmp_gt_i32_e64 s[0:1], s56, v10
	.loc	1 286 36 is_stmt 0              ; fused_moe_aot.py:286:36
	s_and_b64 s[2:3], s[0:1], vcc
	.loc	1 287 21 is_stmt 1              ; fused_moe_aot.py:287:21
	s_and_saveexec_b64 s[0:1], s[2:3]
	s_cbranch_execz .LBB0_126
; %bb.125:
	.loc	1 285 67                        ; fused_moe_aot.py:285:67
	v_mul_lo_u32 v10, v10, s27
	.loc	1 285 55 is_stmt 0              ; fused_moe_aot.py:285:55
	v_ashrrev_i32_e32 v11, 31, v10
	v_lshl_add_u64 v[10:11], v[10:11], 1, v[0:1]
	.loc	1 287 21 is_stmt 1              ; fused_moe_aot.py:287:21
	global_store_short v[10:11], v9, off
.LBB0_126:
	.loc	1 0 21 is_stmt 0                ; fused_moe_aot.py:0:21
	s_or_b64 exec, exec, s[0:1]
	.loc	1 284 37 is_stmt 1              ; fused_moe_aot.py:284:37
	v_or_b32_e32 v10, 3, v3
	.loc	1 286 55                        ; fused_moe_aot.py:286:55
	v_cmp_gt_i32_e64 s[0:1], s56, v10
	.loc	1 286 36 is_stmt 0              ; fused_moe_aot.py:286:36
	s_and_b64 s[2:3], s[0:1], vcc
	.loc	1 287 21 is_stmt 1              ; fused_moe_aot.py:287:21
	s_and_saveexec_b64 s[0:1], s[2:3]
	s_cbranch_execz .LBB0_128
; %bb.127:
	.loc	1 285 67                        ; fused_moe_aot.py:285:67
	v_mul_lo_u32 v10, v10, s27
	.loc	1 285 55 is_stmt 0              ; fused_moe_aot.py:285:55
	v_ashrrev_i32_e32 v11, 31, v10
	v_lshl_add_u64 v[10:11], v[10:11], 1, v[0:1]
	.loc	1 287 21 is_stmt 1              ; fused_moe_aot.py:287:21
	global_store_short_d16_hi v[10:11], v9, off
.LBB0_128:
	.loc	1 0 21 is_stmt 0                ; fused_moe_aot.py:0:21
	s_or_b64 exec, exec, s[0:1]
	.loc	1 284 37 is_stmt 1              ; fused_moe_aot.py:284:37
	v_or_b32_e32 v9, 4, v3
	.loc	1 286 55                        ; fused_moe_aot.py:286:55
	v_cmp_gt_i32_e64 s[0:1], s56, v9
	.loc	1 286 36 is_stmt 0              ; fused_moe_aot.py:286:36
	s_and_b64 s[2:3], s[0:1], vcc
	.loc	1 287 21 is_stmt 1              ; fused_moe_aot.py:287:21
	s_and_saveexec_b64 s[0:1], s[2:3]
	s_cbranch_execz .LBB0_130
; %bb.129:
	.loc	1 285 67                        ; fused_moe_aot.py:285:67
	v_mul_lo_u32 v10, v9, s27
	.loc	1 285 55 is_stmt 0              ; fused_moe_aot.py:285:55
	v_ashrrev_i32_e32 v11, 31, v10
	v_lshl_add_u64 v[10:11], v[10:11], 1, v[0:1]
	.loc	1 287 21 is_stmt 1              ; fused_moe_aot.py:287:21
	global_store_short v[10:11], v8, off
.LBB0_130:
	.loc	1 0 21 is_stmt 0                ; fused_moe_aot.py:0:21
	;; [unrolled: 40-line block ×7, first 2 shown]
	s_or_b64 exec, exec, s[0:1]
	.loc	1 284 37 is_stmt 1              ; fused_moe_aot.py:284:37
	v_or_b32_e32 v3, 23, v3
	.loc	1 285 67                        ; fused_moe_aot.py:285:67
	v_mul_lo_u32 v4, v3, s27
	.loc	1 285 55 is_stmt 0              ; fused_moe_aot.py:285:55
	v_ashrrev_i32_e32 v5, 31, v4
	.loc	1 286 55 is_stmt 1              ; fused_moe_aot.py:286:55
	v_cmp_gt_i32_e64 s[0:1], s56, v3
	.loc	1 285 55                        ; fused_moe_aot.py:285:55
	v_lshl_add_u64 v[0:1], v[4:5], 1, v[0:1]
	.loc	1 286 36                        ; fused_moe_aot.py:286:36
	s_and_b64 s[0:1], s[0:1], vcc
	.loc	1 287 21                        ; fused_moe_aot.py:287:21
	v_lshrrev_b32_e32 v2, 16, v2
	s_branch .LBB0_182
.LBB0_151:
	.loc	1 135 52                        ; fused_moe_aot.py:135:52
	s_lshl_b32 s0, s58, 2
	.loc	1 135 29 is_stmt 0              ; fused_moe_aot.py:135:29
	v_mov_b32_e32 v0, s0
	global_load_dword v3, v0, s[28:29] offset:240
	global_load_dword v4, v0, s[28:29] offset:224
	;; [unrolled: 1-line block ×15, first 2 shown]
	global_load_dword v2, v0, s[28:29]
.Ltmp14:
	.loc	1 21 37 is_stmt 1               ; fused_moe_aot.py:21:37 @[ fused_moe_aot.py:163:12 ]
	v_lshl_or_b32 v18, s57, 6, v18
	.loc	1 22 67                         ; fused_moe_aot.py:22:67 @[ fused_moe_aot.py:163:12 ]
	v_mul_lo_u32 v0, v18, s27
	.loc	1 23 55                         ; fused_moe_aot.py:23:55 @[ fused_moe_aot.py:163:12 ]
	v_cmp_gt_i32_e32 vcc, s56, v18
	.loc	1 22 55                         ; fused_moe_aot.py:22:55 @[ fused_moe_aot.py:163:12 ]
	v_ashrrev_i32_e32 v1, 31, v0
.Ltmp15:
	.loc	1 135 29                        ; fused_moe_aot.py:135:29
	s_waitcnt vmcnt(15)
	v_readfirstlane_b32 s2, v3
	s_waitcnt vmcnt(14)
	v_readfirstlane_b32 s3, v4
	;; [unrolled: 2-line block ×15, first 2 shown]
	.loc	1 146 30                        ; fused_moe_aot.py:146:30
	s_waitcnt vmcnt(0)
	v_readfirstlane_b32 s0, v2
	s_cmp_lt_i32 s0, s33
	s_cselect_b64 s[0:1], -1, 0
.Ltmp16:
	.loc	1 23 36                         ; fused_moe_aot.py:23:36 @[ fused_moe_aot.py:163:12 ]
	s_and_b64 s[20:21], vcc, s[0:1]
	.loc	1 24 21                         ; fused_moe_aot.py:24:21 @[ fused_moe_aot.py:163:12 ]
	s_and_saveexec_b64 s[0:1], s[20:21]
	s_cbranch_execz .LBB0_153
; %bb.152:
	.loc	1 22 33                         ; fused_moe_aot.py:22:33 @[ fused_moe_aot.py:163:12 ]
	v_mul_hi_i32 v3, v2, s26
	v_mul_lo_u32 v2, v2, s26
	.loc	1 22 21 is_stmt 0               ; fused_moe_aot.py:22:21 @[ fused_moe_aot.py:163:12 ]
	v_lshlrev_b64 v[2:3], 1, v[2:3]
	v_lshl_add_u64 v[2:3], s[6:7], 0, v[2:3]
	.loc	1 22 55                         ; fused_moe_aot.py:22:55 @[ fused_moe_aot.py:163:12 ]
	v_lshl_add_u64 v[2:3], v[0:1], 1, v[2:3]
	v_mov_b32_e32 v4, 0
	.loc	1 24 21 is_stmt 1               ; fused_moe_aot.py:24:21 @[ fused_moe_aot.py:163:12 ]
	global_store_short v[2:3], v4, off
.Ltmp17:
.LBB0_153:
	.loc	1 0 21 is_stmt 0                ; fused_moe_aot.py:0:21
	s_or_b64 exec, exec, s[0:1]
	.loc	1 146 30 is_stmt 1              ; fused_moe_aot.py:146:30
	s_cmp_lt_i32 s18, s33
	s_cselect_b64 s[0:1], -1, 0
.Ltmp18:
	.loc	1 23 36                         ; fused_moe_aot.py:23:36 @[ fused_moe_aot.py:163:12 ]
	s_and_b64 s[20:21], vcc, s[0:1]
	.loc	1 24 21                         ; fused_moe_aot.py:24:21 @[ fused_moe_aot.py:163:12 ]
	s_and_saveexec_b64 s[0:1], s[20:21]
	s_cbranch_execz .LBB0_155
; %bb.154:
	.loc	1 22 33                         ; fused_moe_aot.py:22:33 @[ fused_moe_aot.py:163:12 ]
	s_mul_hi_i32 s19, s18, s26
	s_mul_i32 s18, s18, s26
	.loc	1 22 21 is_stmt 0               ; fused_moe_aot.py:22:21 @[ fused_moe_aot.py:163:12 ]
	s_lshl_b64 s[18:19], s[18:19], 1
	s_add_u32 s18, s6, s18
	s_addc_u32 s19, s7, s19
	.loc	1 22 55                         ; fused_moe_aot.py:22:55 @[ fused_moe_aot.py:163:12 ]
	v_lshl_add_u64 v[2:3], v[0:1], 1, s[18:19]
	v_mov_b32_e32 v4, 0
	.loc	1 24 21 is_stmt 1               ; fused_moe_aot.py:24:21 @[ fused_moe_aot.py:163:12 ]
	global_store_short v[2:3], v4, off
.Ltmp19:
.LBB0_155:
	.loc	1 0 21 is_stmt 0                ; fused_moe_aot.py:0:21
	s_or_b64 exec, exec, s[0:1]
	.loc	1 146 30 is_stmt 1              ; fused_moe_aot.py:146:30
	s_cmp_lt_i32 s17, s33
	s_cselect_b64 s[0:1], -1, 0
.Ltmp20:
	.loc	1 23 36                         ; fused_moe_aot.py:23:36 @[ fused_moe_aot.py:163:12 ]
	s_and_b64 s[18:19], vcc, s[0:1]
	.loc	1 24 21                         ; fused_moe_aot.py:24:21 @[ fused_moe_aot.py:163:12 ]
	s_and_saveexec_b64 s[0:1], s[18:19]
	s_cbranch_execz .LBB0_157
; %bb.156:
	.loc	1 22 33                         ; fused_moe_aot.py:22:33 @[ fused_moe_aot.py:163:12 ]
	s_mul_hi_i32 s19, s17, s26
	s_mul_i32 s18, s17, s26
	.loc	1 22 21 is_stmt 0               ; fused_moe_aot.py:22:21 @[ fused_moe_aot.py:163:12 ]
	s_lshl_b64 s[18:19], s[18:19], 1
	s_add_u32 s18, s6, s18
	s_addc_u32 s19, s7, s19
	.loc	1 22 55                         ; fused_moe_aot.py:22:55 @[ fused_moe_aot.py:163:12 ]
	v_lshl_add_u64 v[2:3], v[0:1], 1, s[18:19]
	v_mov_b32_e32 v4, 0
	.loc	1 24 21 is_stmt 1               ; fused_moe_aot.py:24:21 @[ fused_moe_aot.py:163:12 ]
	global_store_short v[2:3], v4, off
.Ltmp21:
.LBB0_157:
	.loc	1 0 21 is_stmt 0                ; fused_moe_aot.py:0:21
	s_or_b64 exec, exec, s[0:1]
	.loc	1 146 30 is_stmt 1              ; fused_moe_aot.py:146:30
	s_cmp_lt_i32 s16, s33
	s_cselect_b64 s[0:1], -1, 0
.Ltmp22:
	.loc	1 23 36                         ; fused_moe_aot.py:23:36 @[ fused_moe_aot.py:163:12 ]
	s_and_b64 s[18:19], vcc, s[0:1]
	.loc	1 24 21                         ; fused_moe_aot.py:24:21 @[ fused_moe_aot.py:163:12 ]
	s_and_saveexec_b64 s[0:1], s[18:19]
	s_cbranch_execz .LBB0_159
; %bb.158:
	.loc	1 22 33                         ; fused_moe_aot.py:22:33 @[ fused_moe_aot.py:163:12 ]
	s_mul_hi_i32 s17, s16, s26
	s_mul_i32 s16, s16, s26
	.loc	1 22 21 is_stmt 0               ; fused_moe_aot.py:22:21 @[ fused_moe_aot.py:163:12 ]
	s_lshl_b64 s[16:17], s[16:17], 1
	s_add_u32 s16, s6, s16
	s_addc_u32 s17, s7, s17
	.loc	1 22 55                         ; fused_moe_aot.py:22:55 @[ fused_moe_aot.py:163:12 ]
	v_lshl_add_u64 v[2:3], v[0:1], 1, s[16:17]
	v_mov_b32_e32 v4, 0
	.loc	1 24 21 is_stmt 1               ; fused_moe_aot.py:24:21 @[ fused_moe_aot.py:163:12 ]
	global_store_short v[2:3], v4, off
.Ltmp23:
.LBB0_159:
	.loc	1 0 21 is_stmt 0                ; fused_moe_aot.py:0:21
	s_or_b64 exec, exec, s[0:1]
	.loc	1 146 30 is_stmt 1              ; fused_moe_aot.py:146:30
	s_cmp_lt_i32 s15, s33
	s_cselect_b64 s[0:1], -1, 0
.Ltmp24:
	.loc	1 23 36                         ; fused_moe_aot.py:23:36 @[ fused_moe_aot.py:163:12 ]
	s_and_b64 s[16:17], vcc, s[0:1]
	.loc	1 24 21                         ; fused_moe_aot.py:24:21 @[ fused_moe_aot.py:163:12 ]
	s_and_saveexec_b64 s[0:1], s[16:17]
	s_cbranch_execz .LBB0_161
; %bb.160:
	.loc	1 22 33                         ; fused_moe_aot.py:22:33 @[ fused_moe_aot.py:163:12 ]
	s_mul_hi_i32 s17, s15, s26
	s_mul_i32 s16, s15, s26
	.loc	1 22 21 is_stmt 0               ; fused_moe_aot.py:22:21 @[ fused_moe_aot.py:163:12 ]
	s_lshl_b64 s[16:17], s[16:17], 1
	s_add_u32 s16, s6, s16
	s_addc_u32 s17, s7, s17
	.loc	1 22 55                         ; fused_moe_aot.py:22:55 @[ fused_moe_aot.py:163:12 ]
	v_lshl_add_u64 v[2:3], v[0:1], 1, s[16:17]
	v_mov_b32_e32 v4, 0
	.loc	1 24 21 is_stmt 1               ; fused_moe_aot.py:24:21 @[ fused_moe_aot.py:163:12 ]
	global_store_short v[2:3], v4, off
.Ltmp25:
.LBB0_161:
	.loc	1 0 21 is_stmt 0                ; fused_moe_aot.py:0:21
	s_or_b64 exec, exec, s[0:1]
	.loc	1 146 30 is_stmt 1              ; fused_moe_aot.py:146:30
	s_cmp_lt_i32 s14, s33
	s_cselect_b64 s[0:1], -1, 0
.Ltmp26:
	.loc	1 23 36                         ; fused_moe_aot.py:23:36 @[ fused_moe_aot.py:163:12 ]
	s_and_b64 s[16:17], vcc, s[0:1]
	.loc	1 24 21                         ; fused_moe_aot.py:24:21 @[ fused_moe_aot.py:163:12 ]
	s_and_saveexec_b64 s[0:1], s[16:17]
	s_cbranch_execz .LBB0_163
; %bb.162:
	.loc	1 22 33                         ; fused_moe_aot.py:22:33 @[ fused_moe_aot.py:163:12 ]
	s_mul_hi_i32 s15, s14, s26
	s_mul_i32 s14, s14, s26
	.loc	1 22 21 is_stmt 0               ; fused_moe_aot.py:22:21 @[ fused_moe_aot.py:163:12 ]
	s_lshl_b64 s[14:15], s[14:15], 1
	s_add_u32 s14, s6, s14
	s_addc_u32 s15, s7, s15
	.loc	1 22 55                         ; fused_moe_aot.py:22:55 @[ fused_moe_aot.py:163:12 ]
	v_lshl_add_u64 v[2:3], v[0:1], 1, s[14:15]
	v_mov_b32_e32 v4, 0
	.loc	1 24 21 is_stmt 1               ; fused_moe_aot.py:24:21 @[ fused_moe_aot.py:163:12 ]
	global_store_short v[2:3], v4, off
.Ltmp27:
.LBB0_163:
	.loc	1 0 21 is_stmt 0                ; fused_moe_aot.py:0:21
	s_or_b64 exec, exec, s[0:1]
	.loc	1 146 30 is_stmt 1              ; fused_moe_aot.py:146:30
	s_cmp_lt_i32 s13, s33
	s_cselect_b64 s[0:1], -1, 0
.Ltmp28:
	.loc	1 23 36                         ; fused_moe_aot.py:23:36 @[ fused_moe_aot.py:163:12 ]
	s_and_b64 s[14:15], vcc, s[0:1]
	.loc	1 24 21                         ; fused_moe_aot.py:24:21 @[ fused_moe_aot.py:163:12 ]
	s_and_saveexec_b64 s[0:1], s[14:15]
	s_cbranch_execz .LBB0_165
; %bb.164:
	.loc	1 22 33                         ; fused_moe_aot.py:22:33 @[ fused_moe_aot.py:163:12 ]
	s_mul_hi_i32 s15, s13, s26
	s_mul_i32 s14, s13, s26
	.loc	1 22 21 is_stmt 0               ; fused_moe_aot.py:22:21 @[ fused_moe_aot.py:163:12 ]
	s_lshl_b64 s[14:15], s[14:15], 1
	s_add_u32 s14, s6, s14
	s_addc_u32 s15, s7, s15
	.loc	1 22 55                         ; fused_moe_aot.py:22:55 @[ fused_moe_aot.py:163:12 ]
	v_lshl_add_u64 v[2:3], v[0:1], 1, s[14:15]
	v_mov_b32_e32 v4, 0
	.loc	1 24 21 is_stmt 1               ; fused_moe_aot.py:24:21 @[ fused_moe_aot.py:163:12 ]
	global_store_short v[2:3], v4, off
.Ltmp29:
.LBB0_165:
	.loc	1 0 21 is_stmt 0                ; fused_moe_aot.py:0:21
	s_or_b64 exec, exec, s[0:1]
	.loc	1 146 30 is_stmt 1              ; fused_moe_aot.py:146:30
	s_cmp_lt_i32 s12, s33
	s_cselect_b64 s[0:1], -1, 0
.Ltmp30:
	.loc	1 23 36                         ; fused_moe_aot.py:23:36 @[ fused_moe_aot.py:163:12 ]
	s_and_b64 s[14:15], vcc, s[0:1]
	.loc	1 24 21                         ; fused_moe_aot.py:24:21 @[ fused_moe_aot.py:163:12 ]
	s_and_saveexec_b64 s[0:1], s[14:15]
	s_cbranch_execz .LBB0_167
; %bb.166:
	.loc	1 22 33                         ; fused_moe_aot.py:22:33 @[ fused_moe_aot.py:163:12 ]
	s_mul_hi_i32 s13, s12, s26
	s_mul_i32 s12, s12, s26
	.loc	1 22 21 is_stmt 0               ; fused_moe_aot.py:22:21 @[ fused_moe_aot.py:163:12 ]
	s_lshl_b64 s[12:13], s[12:13], 1
	s_add_u32 s12, s6, s12
	s_addc_u32 s13, s7, s13
	.loc	1 22 55                         ; fused_moe_aot.py:22:55 @[ fused_moe_aot.py:163:12 ]
	v_lshl_add_u64 v[2:3], v[0:1], 1, s[12:13]
	v_mov_b32_e32 v4, 0
	.loc	1 24 21 is_stmt 1               ; fused_moe_aot.py:24:21 @[ fused_moe_aot.py:163:12 ]
	global_store_short v[2:3], v4, off
.Ltmp31:
.LBB0_167:
	.loc	1 0 21 is_stmt 0                ; fused_moe_aot.py:0:21
	s_or_b64 exec, exec, s[0:1]
	.loc	1 146 30 is_stmt 1              ; fused_moe_aot.py:146:30
	s_cmp_lt_i32 s11, s33
	s_cselect_b64 s[0:1], -1, 0
.Ltmp32:
	.loc	1 23 36                         ; fused_moe_aot.py:23:36 @[ fused_moe_aot.py:163:12 ]
	s_and_b64 s[12:13], vcc, s[0:1]
	.loc	1 24 21                         ; fused_moe_aot.py:24:21 @[ fused_moe_aot.py:163:12 ]
	s_and_saveexec_b64 s[0:1], s[12:13]
	s_cbranch_execz .LBB0_169
; %bb.168:
	.loc	1 22 33                         ; fused_moe_aot.py:22:33 @[ fused_moe_aot.py:163:12 ]
	s_mul_hi_i32 s13, s11, s26
	s_mul_i32 s12, s11, s26
	.loc	1 22 21 is_stmt 0               ; fused_moe_aot.py:22:21 @[ fused_moe_aot.py:163:12 ]
	s_lshl_b64 s[12:13], s[12:13], 1
	s_add_u32 s12, s6, s12
	s_addc_u32 s13, s7, s13
	.loc	1 22 55                         ; fused_moe_aot.py:22:55 @[ fused_moe_aot.py:163:12 ]
	v_lshl_add_u64 v[2:3], v[0:1], 1, s[12:13]
	v_mov_b32_e32 v4, 0
	.loc	1 24 21 is_stmt 1               ; fused_moe_aot.py:24:21 @[ fused_moe_aot.py:163:12 ]
	global_store_short v[2:3], v4, off
.Ltmp33:
.LBB0_169:
	.loc	1 0 21 is_stmt 0                ; fused_moe_aot.py:0:21
	s_or_b64 exec, exec, s[0:1]
	.loc	1 146 30 is_stmt 1              ; fused_moe_aot.py:146:30
	s_cmp_lt_i32 s10, s33
	s_cselect_b64 s[0:1], -1, 0
.Ltmp34:
	.loc	1 23 36                         ; fused_moe_aot.py:23:36 @[ fused_moe_aot.py:163:12 ]
	s_and_b64 s[12:13], vcc, s[0:1]
	.loc	1 24 21                         ; fused_moe_aot.py:24:21 @[ fused_moe_aot.py:163:12 ]
	s_and_saveexec_b64 s[0:1], s[12:13]
	s_cbranch_execz .LBB0_171
; %bb.170:
	.loc	1 22 33                         ; fused_moe_aot.py:22:33 @[ fused_moe_aot.py:163:12 ]
	s_mul_hi_i32 s11, s10, s26
	s_mul_i32 s10, s10, s26
	.loc	1 22 21 is_stmt 0               ; fused_moe_aot.py:22:21 @[ fused_moe_aot.py:163:12 ]
	s_lshl_b64 s[10:11], s[10:11], 1
	s_add_u32 s10, s6, s10
	s_addc_u32 s11, s7, s11
	.loc	1 22 55                         ; fused_moe_aot.py:22:55 @[ fused_moe_aot.py:163:12 ]
	v_lshl_add_u64 v[2:3], v[0:1], 1, s[10:11]
	v_mov_b32_e32 v4, 0
	.loc	1 24 21 is_stmt 1               ; fused_moe_aot.py:24:21 @[ fused_moe_aot.py:163:12 ]
	global_store_short v[2:3], v4, off
.Ltmp35:
.LBB0_171:
	.loc	1 0 21 is_stmt 0                ; fused_moe_aot.py:0:21
	s_or_b64 exec, exec, s[0:1]
	.loc	1 146 30 is_stmt 1              ; fused_moe_aot.py:146:30
	s_cmp_lt_i32 s9, s33
	s_cselect_b64 s[0:1], -1, 0
.Ltmp36:
	.loc	1 23 36                         ; fused_moe_aot.py:23:36 @[ fused_moe_aot.py:163:12 ]
	s_and_b64 s[10:11], vcc, s[0:1]
	.loc	1 24 21                         ; fused_moe_aot.py:24:21 @[ fused_moe_aot.py:163:12 ]
	s_and_saveexec_b64 s[0:1], s[10:11]
	s_cbranch_execz .LBB0_173
; %bb.172:
	.loc	1 22 33                         ; fused_moe_aot.py:22:33 @[ fused_moe_aot.py:163:12 ]
	s_mul_hi_i32 s11, s9, s26
	s_mul_i32 s10, s9, s26
	.loc	1 22 21 is_stmt 0               ; fused_moe_aot.py:22:21 @[ fused_moe_aot.py:163:12 ]
	s_lshl_b64 s[10:11], s[10:11], 1
	s_add_u32 s10, s6, s10
	s_addc_u32 s11, s7, s11
	.loc	1 22 55                         ; fused_moe_aot.py:22:55 @[ fused_moe_aot.py:163:12 ]
	v_lshl_add_u64 v[2:3], v[0:1], 1, s[10:11]
	v_mov_b32_e32 v4, 0
	.loc	1 24 21 is_stmt 1               ; fused_moe_aot.py:24:21 @[ fused_moe_aot.py:163:12 ]
	global_store_short v[2:3], v4, off
.Ltmp37:
.LBB0_173:
	.loc	1 0 21 is_stmt 0                ; fused_moe_aot.py:0:21
	s_or_b64 exec, exec, s[0:1]
	.loc	1 146 30 is_stmt 1              ; fused_moe_aot.py:146:30
	s_cmp_lt_i32 s8, s33
	s_cselect_b64 s[0:1], -1, 0
.Ltmp38:
	.loc	1 23 36                         ; fused_moe_aot.py:23:36 @[ fused_moe_aot.py:163:12 ]
	s_and_b64 s[10:11], vcc, s[0:1]
	.loc	1 24 21                         ; fused_moe_aot.py:24:21 @[ fused_moe_aot.py:163:12 ]
	s_and_saveexec_b64 s[0:1], s[10:11]
	s_cbranch_execz .LBB0_175
; %bb.174:
	.loc	1 22 33                         ; fused_moe_aot.py:22:33 @[ fused_moe_aot.py:163:12 ]
	s_mul_hi_i32 s9, s8, s26
	s_mul_i32 s8, s8, s26
	.loc	1 22 21 is_stmt 0               ; fused_moe_aot.py:22:21 @[ fused_moe_aot.py:163:12 ]
	s_lshl_b64 s[8:9], s[8:9], 1
	s_add_u32 s8, s6, s8
	s_addc_u32 s9, s7, s9
	.loc	1 22 55                         ; fused_moe_aot.py:22:55 @[ fused_moe_aot.py:163:12 ]
	v_lshl_add_u64 v[2:3], v[0:1], 1, s[8:9]
	v_mov_b32_e32 v4, 0
	.loc	1 24 21 is_stmt 1               ; fused_moe_aot.py:24:21 @[ fused_moe_aot.py:163:12 ]
	global_store_short v[2:3], v4, off
.Ltmp39:
.LBB0_175:
	.loc	1 0 21 is_stmt 0                ; fused_moe_aot.py:0:21
	s_or_b64 exec, exec, s[0:1]
	.loc	1 146 30 is_stmt 1              ; fused_moe_aot.py:146:30
	s_cmp_lt_i32 s5, s33
	s_cselect_b64 s[0:1], -1, 0
.Ltmp40:
	.loc	1 23 36                         ; fused_moe_aot.py:23:36 @[ fused_moe_aot.py:163:12 ]
	s_and_b64 s[8:9], vcc, s[0:1]
	.loc	1 24 21                         ; fused_moe_aot.py:24:21 @[ fused_moe_aot.py:163:12 ]
	s_and_saveexec_b64 s[0:1], s[8:9]
	s_cbranch_execz .LBB0_177
; %bb.176:
	.loc	1 22 33                         ; fused_moe_aot.py:22:33 @[ fused_moe_aot.py:163:12 ]
	s_mul_hi_i32 s9, s5, s26
	s_mul_i32 s8, s5, s26
	.loc	1 22 21 is_stmt 0               ; fused_moe_aot.py:22:21 @[ fused_moe_aot.py:163:12 ]
	s_lshl_b64 s[8:9], s[8:9], 1
	s_add_u32 s8, s6, s8
	s_addc_u32 s9, s7, s9
	.loc	1 22 55                         ; fused_moe_aot.py:22:55 @[ fused_moe_aot.py:163:12 ]
	v_lshl_add_u64 v[2:3], v[0:1], 1, s[8:9]
	v_mov_b32_e32 v4, 0
	.loc	1 24 21 is_stmt 1               ; fused_moe_aot.py:24:21 @[ fused_moe_aot.py:163:12 ]
	global_store_short v[2:3], v4, off
.Ltmp41:
.LBB0_177:
	.loc	1 0 21 is_stmt 0                ; fused_moe_aot.py:0:21
	s_or_b64 exec, exec, s[0:1]
	.loc	1 146 30 is_stmt 1              ; fused_moe_aot.py:146:30
	s_cmp_lt_i32 s4, s33
	s_cselect_b64 s[0:1], -1, 0
.Ltmp42:
	.loc	1 23 36                         ; fused_moe_aot.py:23:36 @[ fused_moe_aot.py:163:12 ]
	s_and_b64 s[8:9], vcc, s[0:1]
	.loc	1 24 21                         ; fused_moe_aot.py:24:21 @[ fused_moe_aot.py:163:12 ]
	s_and_saveexec_b64 s[0:1], s[8:9]
	s_cbranch_execz .LBB0_179
; %bb.178:
	.loc	1 22 33                         ; fused_moe_aot.py:22:33 @[ fused_moe_aot.py:163:12 ]
	s_mul_hi_i32 s5, s4, s26
	s_mul_i32 s4, s4, s26
	.loc	1 22 21 is_stmt 0               ; fused_moe_aot.py:22:21 @[ fused_moe_aot.py:163:12 ]
	s_lshl_b64 s[4:5], s[4:5], 1
	s_add_u32 s4, s6, s4
	s_addc_u32 s5, s7, s5
	.loc	1 22 55                         ; fused_moe_aot.py:22:55 @[ fused_moe_aot.py:163:12 ]
	v_lshl_add_u64 v[2:3], v[0:1], 1, s[4:5]
	v_mov_b32_e32 v4, 0
	.loc	1 24 21 is_stmt 1               ; fused_moe_aot.py:24:21 @[ fused_moe_aot.py:163:12 ]
	global_store_short v[2:3], v4, off
.Ltmp43:
.LBB0_179:
	.loc	1 0 21 is_stmt 0                ; fused_moe_aot.py:0:21
	s_or_b64 exec, exec, s[0:1]
	.loc	1 146 30 is_stmt 1              ; fused_moe_aot.py:146:30
	s_cmp_lt_i32 s3, s33
	s_cselect_b64 s[0:1], -1, 0
.Ltmp44:
	.loc	1 23 36                         ; fused_moe_aot.py:23:36 @[ fused_moe_aot.py:163:12 ]
	s_and_b64 s[4:5], vcc, s[0:1]
	.loc	1 24 21                         ; fused_moe_aot.py:24:21 @[ fused_moe_aot.py:163:12 ]
	s_and_saveexec_b64 s[0:1], s[4:5]
	s_cbranch_execz .LBB0_181
; %bb.180:
	.loc	1 22 33                         ; fused_moe_aot.py:22:33 @[ fused_moe_aot.py:163:12 ]
	s_mul_hi_i32 s5, s3, s26
	s_mul_i32 s4, s3, s26
	.loc	1 22 21 is_stmt 0               ; fused_moe_aot.py:22:21 @[ fused_moe_aot.py:163:12 ]
	s_lshl_b64 s[4:5], s[4:5], 1
	s_add_u32 s4, s6, s4
	s_addc_u32 s5, s7, s5
	.loc	1 22 55                         ; fused_moe_aot.py:22:55 @[ fused_moe_aot.py:163:12 ]
	v_lshl_add_u64 v[2:3], v[0:1], 1, s[4:5]
	v_mov_b32_e32 v4, 0
	.loc	1 24 21 is_stmt 1               ; fused_moe_aot.py:24:21 @[ fused_moe_aot.py:163:12 ]
	global_store_short v[2:3], v4, off
.Ltmp45:
.LBB0_181:
	.loc	1 0 21 is_stmt 0                ; fused_moe_aot.py:0:21
	s_or_b64 exec, exec, s[0:1]
	.loc	1 146 30 is_stmt 1              ; fused_moe_aot.py:146:30
	s_cmp_lt_i32 s2, s33
.Ltmp46:
	.loc	1 22 33                         ; fused_moe_aot.py:22:33 @[ fused_moe_aot.py:163:12 ]
	s_mul_hi_i32 s3, s2, s26
	s_mul_i32 s2, s2, s26
.Ltmp47:
	.loc	1 146 30                        ; fused_moe_aot.py:146:30
	s_cselect_b64 s[0:1], -1, 0
.Ltmp48:
	.loc	1 22 21                         ; fused_moe_aot.py:22:21 @[ fused_moe_aot.py:163:12 ]
	s_lshl_b64 s[2:3], s[2:3], 1
	s_add_u32 s2, s6, s2
	s_addc_u32 s3, s7, s3
	.loc	1 22 55 is_stmt 0               ; fused_moe_aot.py:22:55 @[ fused_moe_aot.py:163:12 ]
	v_lshl_add_u64 v[0:1], v[0:1], 1, s[2:3]
	.loc	1 23 36 is_stmt 1               ; fused_moe_aot.py:23:36 @[ fused_moe_aot.py:163:12 ]
	s_and_b64 s[0:1], vcc, s[0:1]
	v_mov_b32_e32 v2, 0
.LBB0_182:                              ; %Flow229
	.loc	1 0 36 is_stmt 0                ; fused_moe_aot.py:0:36
	s_and_saveexec_b64 s[2:3], s[0:1]
	s_xor_b64 s[2:3], exec, s[2:3]
	s_cbranch_execz .LBB0_184
; %bb.183:
	.loc	1 24 21 is_stmt 1               ; fused_moe_aot.py:24:21 @[ fused_moe_aot.py:163:12 ]
	global_store_short v[0:1], v2, off
.Ltmp49:
.LBB0_184:
	.loc	1 132 8                         ; fused_moe_aot.py:132:8
	s_endpgm
.Ltmp50:
	.section	.rodata,"a",@progbits
	.p2align	6, 0x0
	.amdhsa_kernel fused_moe_kernel
		.amdhsa_group_segment_fixed_size 0
		.amdhsa_private_segment_fixed_size 0
		.amdhsa_kernarg_size 168
		.amdhsa_user_sgpr_count 16
		.amdhsa_user_sgpr_dispatch_ptr 0
		.amdhsa_user_sgpr_queue_ptr 0
		.amdhsa_user_sgpr_kernarg_segment_ptr 1
		.amdhsa_user_sgpr_dispatch_id 0
		.amdhsa_user_sgpr_kernarg_preload_length 14
		.amdhsa_user_sgpr_kernarg_preload_offset 0
		.amdhsa_user_sgpr_private_segment_size 0
		.amdhsa_uses_dynamic_stack 0
		.amdhsa_enable_private_segment 0
		.amdhsa_system_sgpr_workgroup_id_x 1
		.amdhsa_system_sgpr_workgroup_id_y 0
		.amdhsa_system_sgpr_workgroup_id_z 0
		.amdhsa_system_sgpr_workgroup_info 0
		.amdhsa_system_vgpr_workitem_id 0
		.amdhsa_next_free_vgpr 90
		.amdhsa_next_free_sgpr 74
		.amdhsa_accum_offset 92
		.amdhsa_reserve_vcc 1
		.amdhsa_reserve_xnack_mask 1
		.amdhsa_float_round_mode_32 0
		.amdhsa_float_round_mode_16_64 0
		.amdhsa_float_denorm_mode_32 3
		.amdhsa_float_denorm_mode_16_64 3
		.amdhsa_dx10_clamp 1
		.amdhsa_ieee_mode 1
		.amdhsa_fp16_overflow 0
		.amdhsa_tg_split 0
		.amdhsa_exception_fp_ieee_invalid_op 0
		.amdhsa_exception_fp_denorm_src 0
		.amdhsa_exception_fp_ieee_div_zero 0
		.amdhsa_exception_fp_ieee_overflow 0
		.amdhsa_exception_fp_ieee_underflow 0
		.amdhsa_exception_fp_ieee_inexact 0
		.amdhsa_exception_int_div_zero 0
	.end_amdhsa_kernel
	.text
.Lfunc_end0:
	.size	fused_moe_kernel, .Lfunc_end0-fused_moe_kernel
	.cfi_endproc
                                        ; -- End function
	.set fused_moe_kernel.num_vgpr, 90
	.set fused_moe_kernel.num_agpr, 0
	.set fused_moe_kernel.numbered_sgpr, 74
	.set fused_moe_kernel.num_named_barrier, 0
	.set fused_moe_kernel.private_seg_size, 0
	.set fused_moe_kernel.uses_vcc, 1
	.set fused_moe_kernel.uses_flat_scratch, 0
	.set fused_moe_kernel.has_dyn_sized_stack, 0
	.set fused_moe_kernel.has_recursion, 0
	.set fused_moe_kernel.has_indirect_call, 0
	.section	.AMDGPU.csdata,"",@progbits
; Kernel info:
; codeLenInByte = 7080
; TotalNumSgprs: 80
; NumVgprs: 90
; NumAgprs: 0
; TotalNumVgprs: 90
; ScratchSize: 0
; MemoryBound: 0
; FloatMode: 240
; IeeeMode: 1
; LDSByteSize: 0 bytes/workgroup (compile time only)
; SGPRBlocks: 9
; VGPRBlocks: 11
; NumSGPRsForWavesPerEU: 80
; NumVGPRsForWavesPerEU: 90
; AccumOffset: 92
; Occupancy: 5
; WaveLimiterHint : 1
; COMPUTE_PGM_RSRC2:SCRATCH_EN: 0
; COMPUTE_PGM_RSRC2:USER_SGPR: 16
; COMPUTE_PGM_RSRC2:TRAP_HANDLER: 0
; COMPUTE_PGM_RSRC2:TGID_X_EN: 1
; COMPUTE_PGM_RSRC2:TGID_Y_EN: 0
; COMPUTE_PGM_RSRC2:TGID_Z_EN: 0
; COMPUTE_PGM_RSRC2:TIDIG_COMP_CNT: 0
; COMPUTE_PGM_RSRC3_GFX90A:ACCUM_OFFSET: 22
; COMPUTE_PGM_RSRC3_GFX90A:TG_SPLIT: 0
	.text
	.p2alignl 6, 3212836864
	.fill 256, 4, 3212836864
	.section	.AMDGPU.gpr_maximums,"",@progbits
	.set amdgpu.max_num_vgpr, 0
	.set amdgpu.max_num_agpr, 0
	.set amdgpu.max_num_sgpr, 0
	.set amdgpu.max_num_named_barrier, 0
	.text
	.section	.debug_abbrev,"",@progbits
	.byte	1                               ; Abbreviation Code
	.byte	17                              ; DW_TAG_compile_unit
	.byte	1                               ; DW_CHILDREN_yes
	.byte	37                              ; DW_AT_producer
	.byte	14                              ; DW_FORM_strp
	.byte	19                              ; DW_AT_language
	.byte	5                               ; DW_FORM_data2
	.byte	3                               ; DW_AT_name
	.byte	14                              ; DW_FORM_strp
	.byte	16                              ; DW_AT_stmt_list
	.byte	23                              ; DW_FORM_sec_offset
	.byte	27                              ; DW_AT_comp_dir
	.byte	14                              ; DW_FORM_strp
	.byte	17                              ; DW_AT_low_pc
	.byte	1                               ; DW_FORM_addr
	.byte	18                              ; DW_AT_high_pc
	.byte	6                               ; DW_FORM_data4
	.byte	0                               ; EOM(1)
	.byte	0                               ; EOM(2)
	.byte	2                               ; Abbreviation Code
	.byte	46                              ; DW_TAG_subprogram
	.byte	0                               ; DW_CHILDREN_no
	.byte	3                               ; DW_AT_name
	.byte	14                              ; DW_FORM_strp
	.byte	32                              ; DW_AT_inline
	.byte	11                              ; DW_FORM_data1
	.byte	0                               ; EOM(1)
	.byte	0                               ; EOM(2)
	.byte	3                               ; Abbreviation Code
	.byte	46                              ; DW_TAG_subprogram
	.byte	1                               ; DW_CHILDREN_yes
	.byte	17                              ; DW_AT_low_pc
	.byte	1                               ; DW_FORM_addr
	.byte	18                              ; DW_AT_high_pc
	.byte	6                               ; DW_FORM_data4
	.byte	49                              ; DW_AT_abstract_origin
	.byte	19                              ; DW_FORM_ref4
	.byte	0                               ; EOM(1)
	.byte	0                               ; EOM(2)
	.byte	4                               ; Abbreviation Code
	.byte	29                              ; DW_TAG_inlined_subroutine
	.byte	0                               ; DW_CHILDREN_no
	.byte	49                              ; DW_AT_abstract_origin
	.byte	19                              ; DW_FORM_ref4
	.byte	17                              ; DW_AT_low_pc
	.byte	1                               ; DW_FORM_addr
	.byte	18                              ; DW_AT_high_pc
	.byte	6                               ; DW_FORM_data4
	.byte	88                              ; DW_AT_call_file
	.byte	11                              ; DW_FORM_data1
	.byte	89                              ; DW_AT_call_line
	.byte	11                              ; DW_FORM_data1
	.byte	87                              ; DW_AT_call_column
	.byte	11                              ; DW_FORM_data1
	.byte	0                               ; EOM(1)
	.byte	0                               ; EOM(2)
	.byte	5                               ; Abbreviation Code
	.byte	29                              ; DW_TAG_inlined_subroutine
	.byte	0                               ; DW_CHILDREN_no
	.byte	49                              ; DW_AT_abstract_origin
	.byte	19                              ; DW_FORM_ref4
	.byte	85                              ; DW_AT_ranges
	.byte	23                              ; DW_FORM_sec_offset
	.byte	88                              ; DW_AT_call_file
	.byte	11                              ; DW_FORM_data1
	.byte	89                              ; DW_AT_call_line
	.byte	11                              ; DW_FORM_data1
	.byte	87                              ; DW_AT_call_column
	.byte	11                              ; DW_FORM_data1
	.byte	0                               ; EOM(1)
	.byte	0                               ; EOM(2)
	;; [unrolled: 1-line block ×3, first 2 shown]
	.section	.debug_info,"",@progbits
.Lcu_begin0:
	.long	.Ldebug_info_end0-.Ldebug_info_start0 ; Length of Unit
.Ldebug_info_start0:
	.short	4                               ; DWARF version number
	.long	.debug_abbrev                   ; Offset Into Abbrev. Section
	.byte	8                               ; Address Size (in bytes)
	.byte	1                               ; Abbrev [1] 0xb:0x70 DW_TAG_compile_unit
	.long	.Linfo_string0                  ; DW_AT_producer
	.short	2                               ; DW_AT_language
	.long	.Linfo_string1                  ; DW_AT_name
	.long	.Lline_table_start0             ; DW_AT_stmt_list
	.long	.Linfo_string2                  ; DW_AT_comp_dir
	.quad	.Lfunc_begin0                   ; DW_AT_low_pc
	.long	.Lfunc_end0-.Lfunc_begin0       ; DW_AT_high_pc
	.byte	2                               ; Abbrev [2] 0x2a:0x6 DW_TAG_subprogram
	.long	.Linfo_string3                  ; DW_AT_name
	.byte	1                               ; DW_AT_inline
	.byte	3                               ; Abbrev [3] 0x30:0x4a DW_TAG_subprogram
	.quad	.Lfunc_begin0                   ; DW_AT_low_pc
	.long	.Lfunc_end0-.Lfunc_begin0       ; DW_AT_high_pc
	.long	42                              ; DW_AT_abstract_origin
	.byte	4                               ; Abbrev [4] 0x41:0x14 DW_TAG_inlined_subroutine
	.long	42                              ; DW_AT_abstract_origin
	.quad	.Ltmp2                          ; DW_AT_low_pc
	.long	.Ltmp3-.Ltmp2                   ; DW_AT_high_pc
	.byte	1                               ; DW_AT_call_file
	.byte	115                             ; DW_AT_call_line
	.byte	27                              ; DW_AT_call_column
	.byte	5                               ; Abbrev [5] 0x55:0xc DW_TAG_inlined_subroutine
	.long	42                              ; DW_AT_abstract_origin
	.long	.Ldebug_ranges0                 ; DW_AT_ranges
	.byte	1                               ; DW_AT_call_file
	.byte	114                             ; DW_AT_call_line
	.byte	28                              ; DW_AT_call_column
	.byte	5                               ; Abbrev [5] 0x61:0xc DW_TAG_inlined_subroutine
	.long	42                              ; DW_AT_abstract_origin
	.long	.Ldebug_ranges1                 ; DW_AT_ranges
	;; [unrolled: 6-line block ×3, first 2 shown]
	.byte	1                               ; DW_AT_call_file
	.byte	163                             ; DW_AT_call_line
	.byte	12                              ; DW_AT_call_column
	.byte	0                               ; End Of Children Mark
	.byte	0                               ; End Of Children Mark
.Ldebug_info_end0:
	.section	.debug_ranges,"",@progbits
.Ldebug_ranges0:
	.quad	.Ltmp4-.Lfunc_begin0
	.quad	.Ltmp5-.Lfunc_begin0
	;; [unrolled: 1-line block ×6, first 2 shown]
	.quad	0
	.quad	0
.Ldebug_ranges1:
	.quad	.Ltmp10-.Lfunc_begin0
	.quad	.Ltmp11-.Lfunc_begin0
	;; [unrolled: 1-line block ×4, first 2 shown]
	.quad	0
	.quad	0
.Ldebug_ranges2:
	.quad	.Ltmp14-.Lfunc_begin0
	.quad	.Ltmp15-.Lfunc_begin0
	;; [unrolled: 1-line block ×36, first 2 shown]
	.quad	0
	.quad	0
	.section	.debug_str,"MS",@progbits,1
.Linfo_string0:
	.asciz	"triton"                        ; string offset=0
.Linfo_string1:
	.asciz	"fused_moe_aot.py"              ; string offset=7
.Linfo_string2:
	.asciz	"/root/src/amdgpu-assembly/repos/vllm-project__vllm/triton_aot_kernels" ; string offset=24
.Linfo_string3:
	.asciz	"fused_moe_kernel"              ; string offset=94
	.section	".note.GNU-stack","",@progbits
	.amdgpu_metadata
---
amdhsa.kernels:
  - .agpr_count:     0
    .args:
      - .address_space:  global
        .offset:         0
        .size:           8
        .value_kind:     global_buffer
      - .address_space:  global
        .offset:         8
        .size:           8
        .value_kind:     global_buffer
      - .address_space:  global
        .offset:         16
        .size:           8
        .value_kind:     global_buffer
      - .address_space:  global
        .offset:         24
        .size:           8
        .value_kind:     global_buffer
      - .address_space:  global
        .offset:         32
        .size:           8
        .value_kind:     global_buffer
      - .address_space:  global
        .offset:         40
        .size:           8
        .value_kind:     global_buffer
      - .address_space:  global
        .offset:         48
        .size:           8
        .value_kind:     global_buffer
      - .address_space:  global
        .offset:         56
        .size:           8
        .value_kind:     global_buffer
      - .address_space:  global
        .offset:         64
        .size:           8
        .value_kind:     global_buffer
      - .address_space:  global
        .offset:         72
        .size:           8
        .value_kind:     global_buffer
      - .offset:         80
        .size:           4
        .value_kind:     by_value
      - .offset:         84
        .size:           4
        .value_kind:     by_value
      - .offset:         88
        .size:           4
        .value_kind:     by_value
      - .offset:         92
        .size:           4
        .value_kind:     by_value
      - .offset:         96
        .size:           4
        .value_kind:     by_value
      - .offset:         100
        .size:           4
        .value_kind:     by_value
      - .offset:         104
        .size:           4
        .value_kind:     by_value
      - .offset:         108
        .size:           4
        .value_kind:     by_value
      - .offset:         112
        .size:           4
        .value_kind:     by_value
      - .offset:         116
        .size:           4
        .value_kind:     by_value
      - .offset:         120
        .size:           4
        .value_kind:     by_value
      - .offset:         124
        .size:           4
        .value_kind:     by_value
      - .offset:         128
        .size:           4
        .value_kind:     by_value
      - .offset:         132
        .size:           4
        .value_kind:     by_value
      - .offset:         136
        .size:           4
        .value_kind:     by_value
      - .offset:         140
        .size:           4
        .value_kind:     by_value
      - .offset:         144
        .size:           4
        .value_kind:     by_value
      - .offset:         148
        .size:           4
        .value_kind:     by_value
      - .address_space:  global
        .offset:         152
        .size:           8
        .value_kind:     global_buffer
      - .address_space:  global
        .offset:         160
        .size:           8
        .value_kind:     global_buffer
    .group_segment_fixed_size: 0
    .kernarg_segment_align: 8
    .kernarg_segment_size: 168
    .max_flat_workgroup_size: 256
    .name:           fused_moe_kernel
    .private_segment_fixed_size: 0
    .sgpr_count:     80
    .sgpr_spill_count: 0
    .symbol:         fused_moe_kernel.kd
    .uniform_work_group_size: 1
    .uses_dynamic_stack: false
    .vgpr_count:     90
    .vgpr_spill_count: 0
    .wavefront_size: 64
amdhsa.target:   amdgcn-amd-amdhsa--gfx950
amdhsa.version:
  - 1
  - 2
...

	.end_amdgpu_metadata
	.section	.debug_line,"",@progbits
.Lline_table_start0:
